;; amdgpu-corpus repo=ROCm/rocFFT kind=compiled arch=gfx1100 opt=O3
	.text
	.amdgcn_target "amdgcn-amd-amdhsa--gfx1100"
	.amdhsa_code_object_version 6
	.protected	fft_rtc_back_len1088_factors_17_4_4_2_2_wgs_204_tpt_68_halfLds_dp_ip_CI_sbrr_dirReg ; -- Begin function fft_rtc_back_len1088_factors_17_4_4_2_2_wgs_204_tpt_68_halfLds_dp_ip_CI_sbrr_dirReg
	.globl	fft_rtc_back_len1088_factors_17_4_4_2_2_wgs_204_tpt_68_halfLds_dp_ip_CI_sbrr_dirReg
	.p2align	8
	.type	fft_rtc_back_len1088_factors_17_4_4_2_2_wgs_204_tpt_68_halfLds_dp_ip_CI_sbrr_dirReg,@function
fft_rtc_back_len1088_factors_17_4_4_2_2_wgs_204_tpt_68_halfLds_dp_ip_CI_sbrr_dirReg: ; @fft_rtc_back_len1088_factors_17_4_4_2_2_wgs_204_tpt_68_halfLds_dp_ip_CI_sbrr_dirReg
; %bb.0:
	s_clause 0x1
	s_load_b64 s[12:13], s[0:1], 0x18
	s_load_b128 s[4:7], s[0:1], 0x0
	v_mul_u32_u24_e32 v1, 0x3c4, v0
	s_load_b64 s[10:11], s[0:1], 0x50
	s_waitcnt lgkmcnt(0)
	s_load_b64 s[8:9], s[12:13], 0x0
	s_delay_alu instid0(VALU_DEP_1) | instskip(SKIP_2) | instid1(VALU_DEP_3)
	v_lshrrev_b32_e32 v2, 16, v1
	v_mov_b32_e32 v1, 0
	v_cmp_lt_u64_e64 s2, s[6:7], 2
	v_mad_u64_u32 v[68:69], null, s15, 3, v[2:3]
	v_mov_b32_e32 v3, 0
	s_delay_alu instid0(VALU_DEP_4) | instskip(NEXT) | instid1(VALU_DEP_4)
	v_dual_mov_b32 v4, 0 :: v_dual_mov_b32 v69, v1
	s_and_b32 vcc_lo, exec_lo, s2
	s_delay_alu instid0(VALU_DEP_1)
	v_dual_mov_b32 v7, v68 :: v_dual_mov_b32 v8, v69
	s_cbranch_vccnz .LBB0_8
; %bb.1:
	s_load_b64 s[2:3], s[0:1], 0x10
	v_mov_b32_e32 v3, 0
	v_dual_mov_b32 v4, 0 :: v_dual_mov_b32 v5, v68
	s_add_u32 s14, s12, 8
	v_mov_b32_e32 v6, v69
	s_addc_u32 s15, s13, 0
	s_mov_b64 s[18:19], 1
	s_waitcnt lgkmcnt(0)
	s_add_u32 s16, s2, 8
	s_addc_u32 s17, s3, 0
.LBB0_2:                                ; =>This Inner Loop Header: Depth=1
	s_load_b64 s[20:21], s[16:17], 0x0
                                        ; implicit-def: $vgpr7_vgpr8
	s_mov_b32 s2, exec_lo
	s_waitcnt lgkmcnt(0)
	v_or_b32_e32 v2, s21, v6
	s_delay_alu instid0(VALU_DEP_1)
	v_cmpx_ne_u64_e32 0, v[1:2]
	s_xor_b32 s3, exec_lo, s2
	s_cbranch_execz .LBB0_4
; %bb.3:                                ;   in Loop: Header=BB0_2 Depth=1
	v_cvt_f32_u32_e32 v2, s20
	v_cvt_f32_u32_e32 v7, s21
	s_sub_u32 s2, 0, s20
	s_subb_u32 s22, 0, s21
	s_delay_alu instid0(VALU_DEP_1) | instskip(NEXT) | instid1(VALU_DEP_1)
	v_fmac_f32_e32 v2, 0x4f800000, v7
	v_rcp_f32_e32 v2, v2
	s_waitcnt_depctr 0xfff
	v_mul_f32_e32 v2, 0x5f7ffffc, v2
	s_delay_alu instid0(VALU_DEP_1) | instskip(NEXT) | instid1(VALU_DEP_1)
	v_mul_f32_e32 v7, 0x2f800000, v2
	v_trunc_f32_e32 v7, v7
	s_delay_alu instid0(VALU_DEP_1) | instskip(SKIP_1) | instid1(VALU_DEP_2)
	v_fmac_f32_e32 v2, 0xcf800000, v7
	v_cvt_u32_f32_e32 v7, v7
	v_cvt_u32_f32_e32 v2, v2
	s_delay_alu instid0(VALU_DEP_2) | instskip(NEXT) | instid1(VALU_DEP_2)
	v_mul_lo_u32 v8, s2, v7
	v_mul_hi_u32 v9, s2, v2
	v_mul_lo_u32 v10, s22, v2
	s_delay_alu instid0(VALU_DEP_2) | instskip(SKIP_1) | instid1(VALU_DEP_2)
	v_add_nc_u32_e32 v8, v9, v8
	v_mul_lo_u32 v9, s2, v2
	v_add_nc_u32_e32 v8, v8, v10
	s_delay_alu instid0(VALU_DEP_2) | instskip(NEXT) | instid1(VALU_DEP_2)
	v_mul_hi_u32 v10, v2, v9
	v_mul_lo_u32 v11, v2, v8
	v_mul_hi_u32 v12, v2, v8
	v_mul_hi_u32 v13, v7, v9
	v_mul_lo_u32 v9, v7, v9
	v_mul_hi_u32 v14, v7, v8
	v_mul_lo_u32 v8, v7, v8
	v_add_co_u32 v10, vcc_lo, v10, v11
	v_add_co_ci_u32_e32 v11, vcc_lo, 0, v12, vcc_lo
	s_delay_alu instid0(VALU_DEP_2) | instskip(NEXT) | instid1(VALU_DEP_2)
	v_add_co_u32 v9, vcc_lo, v10, v9
	v_add_co_ci_u32_e32 v9, vcc_lo, v11, v13, vcc_lo
	v_add_co_ci_u32_e32 v10, vcc_lo, 0, v14, vcc_lo
	s_delay_alu instid0(VALU_DEP_2) | instskip(NEXT) | instid1(VALU_DEP_2)
	v_add_co_u32 v8, vcc_lo, v9, v8
	v_add_co_ci_u32_e32 v9, vcc_lo, 0, v10, vcc_lo
	s_delay_alu instid0(VALU_DEP_2) | instskip(NEXT) | instid1(VALU_DEP_2)
	v_add_co_u32 v2, vcc_lo, v2, v8
	v_add_co_ci_u32_e32 v7, vcc_lo, v7, v9, vcc_lo
	s_delay_alu instid0(VALU_DEP_2) | instskip(SKIP_1) | instid1(VALU_DEP_3)
	v_mul_hi_u32 v8, s2, v2
	v_mul_lo_u32 v10, s22, v2
	v_mul_lo_u32 v9, s2, v7
	s_delay_alu instid0(VALU_DEP_1) | instskip(SKIP_1) | instid1(VALU_DEP_2)
	v_add_nc_u32_e32 v8, v8, v9
	v_mul_lo_u32 v9, s2, v2
	v_add_nc_u32_e32 v8, v8, v10
	s_delay_alu instid0(VALU_DEP_2) | instskip(NEXT) | instid1(VALU_DEP_2)
	v_mul_hi_u32 v10, v2, v9
	v_mul_lo_u32 v11, v2, v8
	v_mul_hi_u32 v12, v2, v8
	v_mul_hi_u32 v13, v7, v9
	v_mul_lo_u32 v9, v7, v9
	v_mul_hi_u32 v14, v7, v8
	v_mul_lo_u32 v8, v7, v8
	v_add_co_u32 v10, vcc_lo, v10, v11
	v_add_co_ci_u32_e32 v11, vcc_lo, 0, v12, vcc_lo
	s_delay_alu instid0(VALU_DEP_2) | instskip(NEXT) | instid1(VALU_DEP_2)
	v_add_co_u32 v9, vcc_lo, v10, v9
	v_add_co_ci_u32_e32 v9, vcc_lo, v11, v13, vcc_lo
	v_add_co_ci_u32_e32 v10, vcc_lo, 0, v14, vcc_lo
	s_delay_alu instid0(VALU_DEP_2) | instskip(NEXT) | instid1(VALU_DEP_2)
	v_add_co_u32 v8, vcc_lo, v9, v8
	v_add_co_ci_u32_e32 v9, vcc_lo, 0, v10, vcc_lo
	s_delay_alu instid0(VALU_DEP_2) | instskip(NEXT) | instid1(VALU_DEP_2)
	v_add_co_u32 v2, vcc_lo, v2, v8
	v_add_co_ci_u32_e32 v13, vcc_lo, v7, v9, vcc_lo
	s_delay_alu instid0(VALU_DEP_2) | instskip(SKIP_1) | instid1(VALU_DEP_3)
	v_mul_hi_u32 v14, v5, v2
	v_mad_u64_u32 v[9:10], null, v6, v2, 0
	v_mad_u64_u32 v[7:8], null, v5, v13, 0
	;; [unrolled: 1-line block ×3, first 2 shown]
	s_delay_alu instid0(VALU_DEP_2) | instskip(NEXT) | instid1(VALU_DEP_3)
	v_add_co_u32 v2, vcc_lo, v14, v7
	v_add_co_ci_u32_e32 v7, vcc_lo, 0, v8, vcc_lo
	s_delay_alu instid0(VALU_DEP_2) | instskip(NEXT) | instid1(VALU_DEP_2)
	v_add_co_u32 v2, vcc_lo, v2, v9
	v_add_co_ci_u32_e32 v2, vcc_lo, v7, v10, vcc_lo
	v_add_co_ci_u32_e32 v7, vcc_lo, 0, v12, vcc_lo
	s_delay_alu instid0(VALU_DEP_2) | instskip(NEXT) | instid1(VALU_DEP_2)
	v_add_co_u32 v2, vcc_lo, v2, v11
	v_add_co_ci_u32_e32 v9, vcc_lo, 0, v7, vcc_lo
	s_delay_alu instid0(VALU_DEP_2) | instskip(SKIP_1) | instid1(VALU_DEP_3)
	v_mul_lo_u32 v10, s21, v2
	v_mad_u64_u32 v[7:8], null, s20, v2, 0
	v_mul_lo_u32 v11, s20, v9
	s_delay_alu instid0(VALU_DEP_2) | instskip(NEXT) | instid1(VALU_DEP_2)
	v_sub_co_u32 v7, vcc_lo, v5, v7
	v_add3_u32 v8, v8, v11, v10
	s_delay_alu instid0(VALU_DEP_1) | instskip(NEXT) | instid1(VALU_DEP_1)
	v_sub_nc_u32_e32 v10, v6, v8
	v_subrev_co_ci_u32_e64 v10, s2, s21, v10, vcc_lo
	v_add_co_u32 v11, s2, v2, 2
	s_delay_alu instid0(VALU_DEP_1) | instskip(SKIP_3) | instid1(VALU_DEP_3)
	v_add_co_ci_u32_e64 v12, s2, 0, v9, s2
	v_sub_co_u32 v13, s2, v7, s20
	v_sub_co_ci_u32_e32 v8, vcc_lo, v6, v8, vcc_lo
	v_subrev_co_ci_u32_e64 v10, s2, 0, v10, s2
	v_cmp_le_u32_e32 vcc_lo, s20, v13
	s_delay_alu instid0(VALU_DEP_3) | instskip(SKIP_1) | instid1(VALU_DEP_4)
	v_cmp_eq_u32_e64 s2, s21, v8
	v_cndmask_b32_e64 v13, 0, -1, vcc_lo
	v_cmp_le_u32_e32 vcc_lo, s21, v10
	v_cndmask_b32_e64 v14, 0, -1, vcc_lo
	v_cmp_le_u32_e32 vcc_lo, s20, v7
	;; [unrolled: 2-line block ×3, first 2 shown]
	v_cndmask_b32_e64 v15, 0, -1, vcc_lo
	v_cmp_eq_u32_e32 vcc_lo, s21, v10
	s_delay_alu instid0(VALU_DEP_2) | instskip(SKIP_3) | instid1(VALU_DEP_3)
	v_cndmask_b32_e64 v7, v15, v7, s2
	v_cndmask_b32_e32 v10, v14, v13, vcc_lo
	v_add_co_u32 v13, vcc_lo, v2, 1
	v_add_co_ci_u32_e32 v14, vcc_lo, 0, v9, vcc_lo
	v_cmp_ne_u32_e32 vcc_lo, 0, v10
	s_delay_alu instid0(VALU_DEP_2) | instskip(NEXT) | instid1(VALU_DEP_4)
	v_cndmask_b32_e32 v8, v14, v12, vcc_lo
	v_cndmask_b32_e32 v10, v13, v11, vcc_lo
	v_cmp_ne_u32_e32 vcc_lo, 0, v7
	s_delay_alu instid0(VALU_DEP_2)
	v_dual_cndmask_b32 v7, v2, v10 :: v_dual_cndmask_b32 v8, v9, v8
.LBB0_4:                                ;   in Loop: Header=BB0_2 Depth=1
	s_and_not1_saveexec_b32 s2, s3
	s_cbranch_execz .LBB0_6
; %bb.5:                                ;   in Loop: Header=BB0_2 Depth=1
	v_cvt_f32_u32_e32 v2, s20
	s_sub_i32 s3, 0, s20
	s_delay_alu instid0(VALU_DEP_1) | instskip(SKIP_2) | instid1(VALU_DEP_1)
	v_rcp_iflag_f32_e32 v2, v2
	s_waitcnt_depctr 0xfff
	v_mul_f32_e32 v2, 0x4f7ffffe, v2
	v_cvt_u32_f32_e32 v2, v2
	s_delay_alu instid0(VALU_DEP_1) | instskip(NEXT) | instid1(VALU_DEP_1)
	v_mul_lo_u32 v7, s3, v2
	v_mul_hi_u32 v7, v2, v7
	s_delay_alu instid0(VALU_DEP_1) | instskip(NEXT) | instid1(VALU_DEP_1)
	v_add_nc_u32_e32 v2, v2, v7
	v_mul_hi_u32 v2, v5, v2
	s_delay_alu instid0(VALU_DEP_1) | instskip(SKIP_1) | instid1(VALU_DEP_2)
	v_mul_lo_u32 v7, v2, s20
	v_add_nc_u32_e32 v8, 1, v2
	v_sub_nc_u32_e32 v7, v5, v7
	s_delay_alu instid0(VALU_DEP_1) | instskip(SKIP_1) | instid1(VALU_DEP_2)
	v_subrev_nc_u32_e32 v9, s20, v7
	v_cmp_le_u32_e32 vcc_lo, s20, v7
	v_dual_cndmask_b32 v7, v7, v9 :: v_dual_cndmask_b32 v2, v2, v8
	s_delay_alu instid0(VALU_DEP_1) | instskip(NEXT) | instid1(VALU_DEP_2)
	v_cmp_le_u32_e32 vcc_lo, s20, v7
	v_add_nc_u32_e32 v8, 1, v2
	s_delay_alu instid0(VALU_DEP_1)
	v_dual_cndmask_b32 v7, v2, v8 :: v_dual_mov_b32 v8, v1
.LBB0_6:                                ;   in Loop: Header=BB0_2 Depth=1
	s_or_b32 exec_lo, exec_lo, s2
	s_load_b64 s[2:3], s[14:15], 0x0
	s_delay_alu instid0(VALU_DEP_1) | instskip(NEXT) | instid1(VALU_DEP_2)
	v_mul_lo_u32 v2, v8, s20
	v_mul_lo_u32 v11, v7, s21
	v_mad_u64_u32 v[9:10], null, v7, s20, 0
	s_add_u32 s18, s18, 1
	s_addc_u32 s19, s19, 0
	s_add_u32 s14, s14, 8
	s_addc_u32 s15, s15, 0
	;; [unrolled: 2-line block ×3, first 2 shown]
	s_delay_alu instid0(VALU_DEP_1) | instskip(SKIP_1) | instid1(VALU_DEP_2)
	v_add3_u32 v2, v10, v11, v2
	v_sub_co_u32 v9, vcc_lo, v5, v9
	v_sub_co_ci_u32_e32 v2, vcc_lo, v6, v2, vcc_lo
	s_waitcnt lgkmcnt(0)
	s_delay_alu instid0(VALU_DEP_2) | instskip(NEXT) | instid1(VALU_DEP_2)
	v_mul_lo_u32 v10, s3, v9
	v_mul_lo_u32 v2, s2, v2
	v_mad_u64_u32 v[5:6], null, s2, v9, v[3:4]
	v_cmp_ge_u64_e64 s2, s[18:19], s[6:7]
	s_delay_alu instid0(VALU_DEP_1) | instskip(NEXT) | instid1(VALU_DEP_2)
	s_and_b32 vcc_lo, exec_lo, s2
	v_add3_u32 v4, v10, v6, v2
	s_delay_alu instid0(VALU_DEP_3)
	v_mov_b32_e32 v3, v5
	s_cbranch_vccnz .LBB0_8
; %bb.7:                                ;   in Loop: Header=BB0_2 Depth=1
	v_dual_mov_b32 v5, v7 :: v_dual_mov_b32 v6, v8
	s_branch .LBB0_2
.LBB0_8:
	s_lshl_b64 s[2:3], s[6:7], 3
	v_mul_hi_u32 v5, 0x3c3c3c4, v0
	s_add_u32 s2, s12, s2
	s_addc_u32 s3, s13, s3
                                        ; implicit-def: $vgpr66_vgpr67
                                        ; implicit-def: $vgpr62_vgpr63
                                        ; implicit-def: $vgpr46_vgpr47
                                        ; implicit-def: $vgpr50_vgpr51
                                        ; implicit-def: $vgpr22_vgpr23
                                        ; implicit-def: $vgpr42_vgpr43
                                        ; implicit-def: $vgpr18_vgpr19
                                        ; implicit-def: $vgpr14_vgpr15
                                        ; implicit-def: $vgpr10_vgpr11
                                        ; implicit-def: $vgpr26_vgpr27
                                        ; implicit-def: $vgpr30_vgpr31
                                        ; implicit-def: $vgpr34_vgpr35
                                        ; implicit-def: $vgpr38_vgpr39
                                        ; implicit-def: $vgpr54_vgpr55
                                        ; implicit-def: $vgpr58_vgpr59
	s_load_b64 s[2:3], s[2:3], 0x0
	s_load_b64 s[0:1], s[0:1], 0x20
	s_waitcnt lgkmcnt(0)
	v_mul_lo_u32 v6, s2, v8
	v_mul_lo_u32 v9, s3, v7
	v_mad_u64_u32 v[1:2], null, s2, v7, v[3:4]
	v_mul_u32_u24_e32 v3, 0x44, v5
	v_cmp_gt_u64_e32 vcc_lo, s[0:1], v[7:8]
	s_delay_alu instid0(VALU_DEP_2) | instskip(NEXT) | instid1(VALU_DEP_4)
	v_sub_nc_u32_e32 v96, v0, v3
	v_add3_u32 v2, v9, v2, v6
                                        ; implicit-def: $vgpr6_vgpr7
	s_delay_alu instid0(VALU_DEP_2) | instskip(NEXT) | instid1(VALU_DEP_2)
	v_cmp_gt_u32_e64 s0, 64, v96
	v_lshlrev_b64 v[98:99], 4, v[1:2]
                                        ; implicit-def: $vgpr2_vgpr3
	s_delay_alu instid0(VALU_DEP_2) | instskip(NEXT) | instid1(SALU_CYCLE_1)
	s_and_b32 s1, vcc_lo, s0
	s_and_saveexec_b32 s2, s1
	s_cbranch_execz .LBB0_10
; %bb.9:
	v_or_b32_e32 v11, 64, v96
	v_mad_u64_u32 v[0:1], null, s8, v96, 0
	v_or_b32_e32 v12, 0x80, v96
	v_or_b32_e32 v16, 0xc0, v96
	s_delay_alu instid0(VALU_DEP_4) | instskip(SKIP_1) | instid1(VALU_DEP_3)
	v_mad_u64_u32 v[2:3], null, s8, v11, 0
	v_add_co_u32 v26, s1, s10, v98
	v_mad_u64_u32 v[7:8], null, s8, v16, 0
	v_add_co_ci_u32_e64 v27, s1, s11, v99, s1
	s_delay_alu instid0(VALU_DEP_4)
	v_mad_u64_u32 v[4:5], null, s9, v96, v[1:2]
	v_mad_u64_u32 v[5:6], null, s8, v12, 0
	v_mov_b32_e32 v1, v3
	v_or_b32_e32 v17, 0x100, v96
	v_or_b32_e32 v20, 0x180, v96
	;; [unrolled: 1-line block ×4, first 2 shown]
	v_mad_u64_u32 v[9:10], null, s9, v11, v[1:2]
	v_dual_mov_b32 v1, v4 :: v_dual_mov_b32 v4, v6
	v_or_b32_e32 v24, 0x340, v96
	v_or_b32_e32 v28, 0x380, v96
	;; [unrolled: 1-line block ×4, first 2 shown]
	v_mov_b32_e32 v3, v9
	v_mad_u64_u32 v[9:10], null, s9, v12, v[4:5]
	v_mad_u64_u32 v[12:13], null, s8, v17, 0
	s_delay_alu instid0(VALU_DEP_2) | instskip(SKIP_3) | instid1(VALU_DEP_3)
	v_mad_u64_u32 v[14:15], null, s9, v16, v[8:9]
	v_mov_b32_e32 v6, v9
	v_lshlrev_b64 v[0:1], 4, v[0:1]
	v_or_b32_e32 v15, 0x140, v96
	v_lshlrev_b64 v[4:5], 4, v[5:6]
	v_mov_b32_e32 v8, v14
	v_lshlrev_b64 v[2:3], 4, v[2:3]
	v_add_co_u32 v0, s1, v26, v0
	s_delay_alu instid0(VALU_DEP_1) | instskip(SKIP_1) | instid1(VALU_DEP_4)
	v_add_co_ci_u32_e64 v1, s1, v27, v1, s1
	v_mov_b32_e32 v6, v13
	v_add_co_u32 v10, s1, v26, v2
	s_delay_alu instid0(VALU_DEP_1)
	v_add_co_ci_u32_e64 v11, s1, v27, v3, s1
	s_clause 0x1
	global_load_b128 v[0:3], v[0:1], off
	global_load_b128 v[64:67], v[10:11], off
	v_mad_u64_u32 v[9:10], null, s8, v15, 0
	v_mad_u64_u32 v[13:14], null, s9, v17, v[6:7]
	v_lshlrev_b64 v[7:8], 4, v[7:8]
	v_add_co_u32 v4, s1, v26, v4
	s_delay_alu instid0(VALU_DEP_1) | instskip(SKIP_2) | instid1(VALU_DEP_2)
	v_add_co_ci_u32_e64 v5, s1, v27, v5, s1
	v_mov_b32_e32 v6, v10
	v_mad_u64_u32 v[16:17], null, s8, v21, 0
	v_mad_u64_u32 v[10:11], null, s9, v15, v[6:7]
	;; [unrolled: 1-line block ×3, first 2 shown]
	v_add_co_u32 v6, s1, v26, v7
	v_lshlrev_b64 v[11:12], 4, v[12:13]
	v_add_co_ci_u32_e64 v7, s1, v27, v8, s1
	v_lshlrev_b64 v[9:10], 4, v[9:10]
	v_mov_b32_e32 v8, v15
	v_or_b32_e32 v13, 0x200, v96
	v_add_co_u32 v11, s1, v26, v11
	s_delay_alu instid0(VALU_DEP_1) | instskip(NEXT) | instid1(VALU_DEP_4)
	v_add_co_ci_u32_e64 v12, s1, v27, v12, s1
	v_mad_u64_u32 v[18:19], null, s9, v20, v[8:9]
	v_mov_b32_e32 v8, v17
	v_add_co_u32 v9, s1, v26, v9
	v_or_b32_e32 v20, 0x240, v96
	v_add_co_ci_u32_e64 v10, s1, v27, v10, s1
	v_mov_b32_e32 v15, v18
	s_delay_alu instid0(VALU_DEP_4)
	v_mad_u64_u32 v[17:18], null, s9, v21, v[8:9]
	v_mad_u64_u32 v[18:19], null, s8, v13, 0
	s_clause 0x3
	global_load_b128 v[60:63], v[4:5], off
	global_load_b128 v[56:59], v[6:7], off
	;; [unrolled: 1-line block ×4, first 2 shown]
	v_mad_u64_u32 v[7:8], null, s8, v20, 0
	v_lshlrev_b64 v[4:5], 4, v[14:15]
	v_lshlrev_b64 v[9:10], 4, v[16:17]
	v_or_b32_e32 v21, 0x280, v96
	v_mov_b32_e32 v6, v19
	v_mad_u64_u32 v[14:15], null, s8, v22, 0
	v_add_co_u32 v4, s1, v26, v4
	s_delay_alu instid0(VALU_DEP_3)
	v_mad_u64_u32 v[11:12], null, s9, v13, v[6:7]
	v_mov_b32_e32 v6, v8
	v_add_co_ci_u32_e64 v5, s1, v27, v5, s1
	v_add_co_u32 v8, s1, v26, v9
	v_mad_u64_u32 v[12:13], null, s8, v21, 0
	v_add_co_ci_u32_e64 v9, s1, v27, v10, s1
	v_mov_b32_e32 v19, v11
	v_mad_u64_u32 v[10:11], null, s9, v20, v[6:7]
	s_clause 0x1
	global_load_b128 v[48:51], v[4:5], off
	global_load_b128 v[36:39], v[8:9], off
	v_mov_b32_e32 v6, v13
	v_lshlrev_b64 v[4:5], 4, v[18:19]
	v_mov_b32_e32 v8, v10
	s_delay_alu instid0(VALU_DEP_3) | instskip(SKIP_1) | instid1(VALU_DEP_4)
	v_mad_u64_u32 v[16:17], null, s9, v21, v[6:7]
	v_mov_b32_e32 v6, v15
	v_add_co_u32 v4, s1, v26, v4
	s_delay_alu instid0(VALU_DEP_4) | instskip(SKIP_3) | instid1(VALU_DEP_4)
	v_lshlrev_b64 v[7:8], 4, v[7:8]
	v_add_co_ci_u32_e64 v5, s1, v27, v5, s1
	v_mov_b32_e32 v13, v16
	v_or_b32_e32 v16, 0x300, v96
	v_mad_u64_u32 v[9:10], null, s9, v22, v[6:7]
	s_delay_alu instid0(VALU_DEP_3) | instskip(NEXT) | instid1(VALU_DEP_3)
	v_lshlrev_b64 v[10:11], 4, v[12:13]
	v_mad_u64_u32 v[12:13], null, s8, v16, 0
	v_add_co_u32 v6, s1, v26, v7
	s_delay_alu instid0(VALU_DEP_1)
	v_add_co_ci_u32_e64 v7, s1, v27, v8, s1
	v_mov_b32_e32 v15, v9
	s_clause 0x1
	global_load_b128 v[32:35], v[4:5], off
	global_load_b128 v[20:23], v[6:7], off
	v_mov_b32_e32 v6, v13
	v_add_co_u32 v4, s1, v26, v10
	v_lshlrev_b64 v[7:8], 4, v[14:15]
	v_add_co_ci_u32_e64 v5, s1, v27, v11, s1
	v_mad_u64_u32 v[14:15], null, s8, v28, 0
	s_delay_alu instid0(VALU_DEP_3) | instskip(SKIP_2) | instid1(VALU_DEP_1)
	v_mad_u64_u32 v[9:10], null, s9, v16, v[6:7]
	v_mad_u64_u32 v[10:11], null, s8, v24, 0
	v_add_co_u32 v6, s1, v26, v7
	v_add_co_ci_u32_e64 v7, s1, v27, v8, s1
	s_delay_alu instid0(VALU_DEP_4) | instskip(SKIP_3) | instid1(VALU_DEP_2)
	v_mov_b32_e32 v13, v9
	v_mov_b32_e32 v9, v15
	;; [unrolled: 1-line block ×3, first 2 shown]
	v_mad_u64_u32 v[16:17], null, s8, v69, 0
	v_mad_u64_u32 v[18:19], null, s9, v24, v[8:9]
	;; [unrolled: 1-line block ×4, first 2 shown]
	s_clause 0x1
	global_load_b128 v[40:43], v[4:5], off
	global_load_b128 v[28:31], v[6:7], off
	v_lshlrev_b64 v[5:6], 4, v[12:13]
	v_dual_mov_b32 v4, v17 :: v_dual_mov_b32 v11, v18
	v_mov_b32_e32 v15, v24
	s_delay_alu instid0(VALU_DEP_2) | instskip(SKIP_4) | instid1(VALU_DEP_3)
	v_mad_u64_u32 v[12:13], null, s9, v69, v[4:5]
	v_mov_b32_e32 v4, v9
	v_add_co_u32 v5, s1, v26, v5
	v_lshlrev_b64 v[9:10], 4, v[10:11]
	v_add_co_ci_u32_e64 v6, s1, v27, v6, s1
	v_mad_u64_u32 v[18:19], null, s9, v70, v[4:5]
	v_mov_b32_e32 v17, v12
	v_lshlrev_b64 v[13:14], 4, v[14:15]
	v_add_co_u32 v11, s1, v26, v9
	s_delay_alu instid0(VALU_DEP_1) | instskip(SKIP_3) | instid1(VALU_DEP_1)
	v_add_co_ci_u32_e64 v12, s1, v27, v10, s1
	v_mov_b32_e32 v9, v18
	v_lshlrev_b64 v[15:16], 4, v[16:17]
	v_add_co_u32 v13, s1, v26, v13
	v_add_co_ci_u32_e64 v14, s1, v27, v14, s1
	s_delay_alu instid0(VALU_DEP_4) | instskip(NEXT) | instid1(VALU_DEP_4)
	v_lshlrev_b64 v[7:8], 4, v[8:9]
	v_add_co_u32 v9, s1, v26, v15
	s_delay_alu instid0(VALU_DEP_1) | instskip(NEXT) | instid1(VALU_DEP_3)
	v_add_co_ci_u32_e64 v10, s1, v27, v16, s1
	v_add_co_u32 v69, s1, v26, v7
	s_delay_alu instid0(VALU_DEP_1)
	v_add_co_ci_u32_e64 v70, s1, v27, v8, s1
	s_clause 0x4
	global_load_b128 v[24:27], v[5:6], off
	global_load_b128 v[16:19], v[11:12], off
	global_load_b128 v[12:15], v[13:14], off
	global_load_b128 v[8:11], v[9:10], off
	global_load_b128 v[4:7], v[69:70], off
.LBB0_10:
	s_or_b32 exec_lo, exec_lo, s2
	v_mul_hi_u32 v69, 0xaaaaaaab, v68
	s_delay_alu instid0(VALU_DEP_1) | instskip(NEXT) | instid1(VALU_DEP_1)
	v_lshrrev_b32_e32 v69, 1, v69
	v_lshl_add_u32 v69, v69, 1, v69
	s_delay_alu instid0(VALU_DEP_1) | instskip(NEXT) | instid1(VALU_DEP_1)
	v_sub_nc_u32_e32 v68, v68, v69
	v_mul_u32_u24_e32 v68, 0x440, v68
	s_delay_alu instid0(VALU_DEP_1)
	v_lshlrev_b32_e32 v102, 3, v68
	s_and_saveexec_b32 s1, s0
	s_cbranch_execz .LBB0_12
; %bb.11:
	s_waitcnt vmcnt(15)
	v_add_f64 v[68:69], v[64:65], v[0:1]
	s_waitcnt vmcnt(0)
	v_add_f64 v[70:71], v[64:65], v[4:5]
	s_mov_b32 s42, 0x910ea3b9
	s_mov_b32 s52, 0xc61f0d01
	;; [unrolled: 1-line block ×9, first 2 shown]
	v_add_f64 v[72:73], v[60:61], v[8:9]
	v_add_f64 v[74:75], v[66:67], -v[6:7]
	s_mov_b32 s47, 0xbfef7484
	s_mov_b32 s44, 0x2b2883cd
	;; [unrolled: 1-line block ×22, first 2 shown]
	v_add_f64 v[76:77], v[62:63], -v[10:11]
	s_mov_b32 s17, 0x3fc7851a
	s_mov_b32 s19, 0xbfc7851a
	v_add_f64 v[68:69], v[60:61], v[68:69]
	v_mul_f64 v[107:108], v[70:71], s[42:43]
	v_mul_f64 v[109:110], v[70:71], s[52:53]
	;; [unrolled: 1-line block ×8, first 2 shown]
	v_add_f64 v[78:79], v[12:13], v[56:57]
	s_mov_b32 s18, s16
	v_mul_f64 v[117:118], v[72:73], s[44:45]
	v_mul_f64 v[119:120], v[72:73], s[52:53]
	;; [unrolled: 1-line block ×8, first 2 shown]
	s_mov_b32 s12, 0x7c9e640b
	s_mov_b32 s34, 0x2a9d6da3
	;; [unrolled: 1-line block ×14, first 2 shown]
	v_add_f64 v[80:81], v[58:59], -v[14:15]
	v_add_f64 v[82:83], v[16:17], v[52:53]
	v_add_f64 v[84:85], v[54:55], -v[18:19]
	v_add_f64 v[86:87], v[44:45], v[24:25]
	;; [unrolled: 2-line block ×3, first 2 shown]
	v_fma_f64 v[171:172], v[74:75], s[6:7], v[107:108]
	v_fma_f64 v[173:174], v[74:75], s[30:31], v[109:110]
	;; [unrolled: 1-line block ×16, first 2 shown]
	v_mul_f64 v[129:130], v[78:79], s[48:49]
	v_mul_f64 v[131:132], v[78:79], s[50:51]
	;; [unrolled: 1-line block ×8, first 2 shown]
	v_fma_f64 v[193:194], v[76:77], s[20:21], v[117:118]
	v_fma_f64 v[195:196], v[76:77], s[22:23], v[119:120]
	;; [unrolled: 1-line block ×13, first 2 shown]
	v_add_f64 v[68:69], v[52:53], v[68:69]
	v_fma_f64 v[165:166], v[76:77], s[26:27], v[165:166]
	v_fma_f64 v[207:208], v[76:77], s[38:39], v[72:73]
	;; [unrolled: 1-line block ×3, first 2 shown]
	v_add_f64 v[76:77], v[171:172], v[0:1]
	v_add_f64 v[171:172], v[173:174], v[0:1]
	;; [unrolled: 1-line block ×16, first 2 shown]
	v_mul_f64 v[137:138], v[82:83], s[56:57]
	v_mul_f64 v[139:140], v[82:83], s[42:43]
	;; [unrolled: 1-line block ×8, first 2 shown]
	v_fma_f64 v[213:214], v[80:81], s[26:27], v[129:130]
	v_fma_f64 v[215:216], v[80:81], s[28:29], v[131:132]
	;; [unrolled: 1-line block ×10, first 2 shown]
	v_add_f64 v[68:69], v[44:45], v[68:69]
	v_fma_f64 v[223:224], v[80:81], s[18:19], v[189:190]
	v_fma_f64 v[189:190], v[80:81], s[16:17], v[189:190]
	v_fma_f64 v[225:226], v[80:81], s[14:15], v[191:192]
	v_fma_f64 v[191:192], v[80:81], s[24:25], v[191:192]
	v_fma_f64 v[227:228], v[80:81], s[20:21], v[78:79]
	v_fma_f64 v[78:79], v[80:81], s[12:13], v[78:79]
	v_add_f64 v[80:81], v[197:198], v[171:172]
	v_add_f64 v[171:172], v[199:200], v[173:174]
	;; [unrolled: 1-line block ×17, first 2 shown]
	v_mul_f64 v[151:152], v[86:87], s[46:47]
	v_mul_f64 v[153:154], v[86:87], s[44:45]
	v_fma_f64 v[165:166], v[84:85], s[14:15], v[137:138]
	v_fma_f64 v[177:178], v[84:85], s[6:7], v[139:140]
	;; [unrolled: 1-line block ×12, first 2 shown]
	v_add_f64 v[68:69], v[48:49], v[68:69]
	v_fma_f64 v[197:198], v[84:85], s[16:17], v[211:212]
	v_fma_f64 v[199:200], v[84:85], s[18:19], v[211:212]
	;; [unrolled: 1-line block ×4, first 2 shown]
	v_mul_f64 v[145:146], v[86:87], s[50:51]
	v_mul_f64 v[147:148], v[86:87], s[48:49]
	v_add_f64 v[80:81], v[217:218], v[80:81]
	v_add_f64 v[84:85], v[219:220], v[171:172]
	v_mul_f64 v[127:128], v[86:87], s[56:57]
	v_mul_f64 v[149:150], v[86:87], s[54:55]
	v_mul_f64 v[161:162], v[86:87], s[42:43]
	v_mul_f64 v[86:87], v[86:87], s[52:53]
	v_add_f64 v[76:77], v[213:214], v[76:77]
	v_add_f64 v[171:172], v[215:216], v[173:174]
	;; [unrolled: 1-line block ×14, first 2 shown]
	v_add_f64 v[92:93], v[50:51], -v[30:31]
	v_add_f64 v[94:95], v[40:41], v[36:37]
	v_mul_f64 v[159:160], v[90:91], s[48:49]
	v_mul_f64 v[163:164], v[90:91], s[42:43]
	v_fma_f64 v[187:188], v[88:89], s[18:19], v[151:152]
	v_fma_f64 v[189:190], v[88:89], s[12:13], v[153:154]
	v_mul_f64 v[155:156], v[90:91], s[46:47]
	v_mul_f64 v[157:158], v[90:91], s[54:55]
	v_fma_f64 v[151:152], v[88:89], s[16:17], v[151:152]
	v_fma_f64 v[153:154], v[88:89], s[20:21], v[153:154]
	v_mul_f64 v[129:130], v[90:91], s[44:45]
	v_add_f64 v[68:69], v[36:37], v[68:69]
	v_mul_f64 v[131:132], v[90:91], s[50:51]
	v_mul_f64 v[133:134], v[90:91], s[52:53]
	;; [unrolled: 1-line block ×3, first 2 shown]
	v_add_f64 v[100:101], v[38:39], -v[42:43]
	v_fma_f64 v[135:136], v[88:89], s[28:29], v[145:146]
	v_fma_f64 v[175:176], v[88:89], s[40:41], v[147:148]
	v_add_f64 v[80:81], v[179:180], v[80:81]
	v_add_f64 v[84:85], v[181:182], v[84:85]
	v_fma_f64 v[191:192], v[88:89], s[14:15], v[127:128]
	v_fma_f64 v[127:128], v[88:89], s[24:25], v[127:128]
	;; [unrolled: 1-line block ×10, first 2 shown]
	v_add_f64 v[76:77], v[165:166], v[76:77]
	v_add_f64 v[88:89], v[177:178], v[171:172]
	;; [unrolled: 1-line block ×15, first 2 shown]
	v_mul_f64 v[74:75], v[94:95], s[50:51]
	v_mul_f64 v[70:71], v[94:95], s[56:57]
	v_fma_f64 v[173:174], v[92:93], s[40:41], v[159:160]
	v_fma_f64 v[177:178], v[92:93], s[6:7], v[163:164]
	v_add_f64 v[68:69], v[32:33], v[68:69]
	v_mul_f64 v[167:168], v[94:95], s[54:55]
	v_mul_f64 v[169:170], v[94:95], s[46:47]
	v_fma_f64 v[143:144], v[92:93], s[18:19], v[155:156]
	v_fma_f64 v[171:172], v[92:93], s[34:35], v[157:158]
	v_mul_f64 v[137:138], v[94:95], s[52:53]
	v_mul_f64 v[139:140], v[94:95], s[48:49]
	v_add_f64 v[80:81], v[187:188], v[80:81]
	v_add_f64 v[84:85], v[189:190], v[84:85]
	v_mul_f64 v[141:142], v[94:95], s[44:45]
	v_mul_f64 v[94:95], v[94:95], s[42:43]
	v_fma_f64 v[179:180], v[92:93], s[12:13], v[129:130]
	v_fma_f64 v[129:130], v[92:93], s[20:21], v[129:130]
	;; [unrolled: 1-line block ×8, first 2 shown]
	v_add_f64 v[76:77], v[135:136], v[76:77]
	v_add_f64 v[88:89], v[175:176], v[88:89]
	v_fma_f64 v[183:184], v[92:93], s[30:31], v[133:134]
	v_fma_f64 v[133:134], v[92:93], s[22:23], v[133:134]
	;; [unrolled: 1-line block ×4, first 2 shown]
	v_add_f64 v[92:93], v[191:192], v[165:166]
	v_add_f64 v[115:116], v[127:128], v[115:116]
	v_add_f64 v[107:108], v[145:146], v[107:108]
	v_add_f64 v[113:114], v[147:148], v[113:114]
	v_add_f64 v[109:110], v[151:152], v[109:110]
	v_add_f64 v[111:112], v[153:154], v[111:112]
	v_add_f64 v[117:118], v[203:204], v[117:118]
	v_add_f64 v[119:120], v[149:150], v[119:120]
	v_add_f64 v[121:122], v[205:206], v[121:122]
	v_add_f64 v[72:73], v[207:208], v[72:73]
	v_add_f64 v[78:79], v[161:162], v[78:79]
	v_add_f64 v[0:1], v[86:87], v[0:1]
	v_add_f64 v[105:106], v[34:35], -v[22:23]
	v_add_f64 v[68:69], v[20:21], v[68:69]
	v_mul_f64 v[123:124], v[103:104], s[56:57]
	v_mul_f64 v[82:83], v[103:104], s[54:55]
	v_fma_f64 v[151:152], v[100:101], s[28:29], v[74:75]
	v_fma_f64 v[153:154], v[100:101], s[14:15], v[70:71]
	v_mul_f64 v[125:126], v[103:104], s[52:53]
	v_mul_f64 v[86:87], v[103:104], s[44:45]
	v_add_f64 v[80:81], v[173:174], v[80:81]
	v_add_f64 v[84:85], v[177:178], v[84:85]
	v_fma_f64 v[147:148], v[100:101], s[38:39], v[167:168]
	v_fma_f64 v[149:150], v[100:101], s[18:19], v[169:170]
	v_mul_f64 v[127:128], v[103:104], s[48:49]
	v_fma_f64 v[161:162], v[100:101], s[22:23], v[137:138]
	v_fma_f64 v[137:138], v[100:101], s[30:31], v[137:138]
	;; [unrolled: 1-line block ×7, first 2 shown]
	v_add_f64 v[76:77], v[143:144], v[76:77]
	v_add_f64 v[88:89], v[171:172], v[88:89]
	v_fma_f64 v[139:140], v[100:101], s[26:27], v[139:140]
	v_fma_f64 v[175:176], v[100:101], s[12:13], v[141:142]
	;; [unrolled: 1-line block ×5, first 2 shown]
	v_add_f64 v[92:93], v[179:180], v[92:93]
	v_add_f64 v[100:101], v[129:130], v[115:116]
	v_mul_f64 v[135:136], v[103:104], s[42:43]
	v_mul_f64 v[145:146], v[103:104], s[50:51]
	;; [unrolled: 1-line block ×3, first 2 shown]
	v_add_f64 v[107:108], v[155:156], v[107:108]
	v_add_f64 v[113:114], v[157:158], v[113:114]
	;; [unrolled: 1-line block ×11, first 2 shown]
	v_fma_f64 v[121:122], v[105:106], s[24:25], v[123:124]
	v_fma_f64 v[129:130], v[105:106], s[38:39], v[82:83]
	;; [unrolled: 1-line block ×3, first 2 shown]
	v_add_f64 v[80:81], v[151:152], v[80:81]
	v_add_f64 v[84:85], v[153:154], v[84:85]
	v_fma_f64 v[131:132], v[105:106], s[20:21], v[86:87]
	v_fma_f64 v[125:126], v[105:106], s[22:23], v[125:126]
	;; [unrolled: 1-line block ×7, first 2 shown]
	v_mul_u32_u24_e32 v97, 0x88, v96
	v_add_f64 v[76:77], v[147:148], v[76:77]
	v_add_f64 v[88:89], v[149:150], v[88:89]
	s_delay_alu instid0(VALU_DEP_3)
	v_add3_u32 v97, 0, v97, v102
	v_add_f64 v[92:93], v[161:162], v[92:93]
	v_add_f64 v[100:101], v[137:138], v[100:101]
	v_fma_f64 v[143:144], v[105:106], s[2:3], v[135:136]
	v_fma_f64 v[135:136], v[105:106], s[6:7], v[135:136]
	;; [unrolled: 1-line block ×6, first 2 shown]
	v_add_f64 v[105:106], v[165:166], v[107:108]
	v_add_f64 v[107:108], v[167:168], v[113:114]
	;; [unrolled: 1-line block ×29, first 2 shown]
	s_delay_alu instid0(VALU_DEP_1) | instskip(NEXT) | instid1(VALU_DEP_1)
	v_add_f64 v[68:69], v[12:13], v[68:69]
	v_add_f64 v[68:69], v[8:9], v[68:69]
	s_delay_alu instid0(VALU_DEP_1)
	v_add_f64 v[68:69], v[4:5], v[68:69]
	ds_store_2addr_b64 v97, v[84:85], v[80:81] offset0:4 offset1:5
	ds_store_2addr_b64 v97, v[88:89], v[76:77] offset0:6 offset1:7
	;; [unrolled: 1-line block ×6, first 2 shown]
	ds_store_2addr_b64 v97, v[68:69], v[72:73] offset1:1
	ds_store_2addr_b64 v97, v[78:79], v[100:101] offset0:2 offset1:3
	ds_store_b64 v97, v[0:1] offset:128
.LBB0_12:
	s_or_b32 exec_lo, exec_lo, s1
	s_waitcnt vmcnt(16)
	v_lshlrev_b32_e32 v0, 3, v96
	s_waitcnt vmcnt(0) lgkmcnt(0)
	s_barrier
	buffer_gl0_inv
	v_add_nc_u32_e32 v97, 0, v0
	v_add3_u32 v104, 0, v102, v0
	s_delay_alu instid0(VALU_DEP_2) | instskip(NEXT) | instid1(VALU_DEP_1)
	v_add_nc_u32_e32 v103, v97, v102
	v_add_nc_u32_e32 v108, 0x400, v103
	;; [unrolled: 1-line block ×6, first 2 shown]
	ds_load_2addr_b64 v[68:71], v103 offset0:68 offset1:136
	v_add_nc_u32_e32 v107, 0x1800, v103
	ds_load_2addr_b64 v[72:75], v108 offset0:76 offset1:144
	ds_load_2addr_b64 v[76:79], v110 offset0:92 offset1:160
	;; [unrolled: 1-line block ×6, first 2 shown]
	ds_load_b64 v[0:1], v104
	ds_load_b64 v[100:101], v103 offset:8160
	s_waitcnt lgkmcnt(0)
	s_barrier
	buffer_gl0_inv
	s_and_saveexec_b32 s33, s0
	s_cbranch_execz .LBB0_14
; %bb.13:
	v_add_f64 v[111:112], v[66:67], v[2:3]
	v_add_f64 v[4:5], v[64:65], -v[4:5]
	v_add_f64 v[8:9], v[60:61], -v[8:9]
	s_mov_b32 s26, 0x5d8e7cdc
	s_mov_b32 s36, 0x2a9d6da3
	;; [unrolled: 1-line block ×13, first 2 shown]
	v_add_f64 v[66:67], v[66:67], v[6:7]
	s_mov_b32 s39, 0xbfc7851a
	v_add_f64 v[12:13], v[56:57], -v[12:13]
	v_add_f64 v[16:17], v[52:53], -v[16:17]
	;; [unrolled: 1-line block ×3, first 2 shown]
	v_add_f64 v[44:45], v[50:51], v[30:31]
	v_add_f64 v[20:21], v[32:33], -v[20:21]
	s_mov_b32 s44, 0x7c9e640b
	s_mov_b32 s45, 0xbfeca52d
	v_add_f64 v[28:29], v[48:49], -v[28:29]
	v_add_f64 v[48:49], v[42:43], v[38:39]
	s_mov_b32 s0, 0x370991
	s_mov_b32 s2, 0x75d4884
	;; [unrolled: 1-line block ×11, first 2 shown]
	v_add_f64 v[111:112], v[62:63], v[111:112]
	v_mul_f64 v[32:33], v[4:5], s[26:27]
	v_mul_f64 v[52:53], v[4:5], s[34:35]
	v_mul_f64 v[56:57], v[4:5], s[20:21]
	v_mul_f64 v[113:114], v[4:5], s[38:39]
	s_mov_b32 s49, 0x3feec746
	s_mov_b32 s31, 0x3feca52d
	;; [unrolled: 1-line block ×11, first 2 shown]
	v_add_f64 v[62:63], v[62:63], v[10:11]
	v_mul_f64 v[115:116], v[8:9], s[36:37]
	v_mul_f64 v[117:118], v[8:9], s[34:35]
	;; [unrolled: 1-line block ×6, first 2 shown]
	s_mov_b32 s6, 0x2b2883cd
	s_mov_b32 s7, 0x3fdc86fa
	v_add_f64 v[36:37], v[36:37], -v[40:41]
	v_add_f64 v[40:41], v[22:23], v[34:35]
	s_mov_b32 s55, 0x3fc7851a
	s_mov_b32 s41, 0x3fe58eea
	;; [unrolled: 1-line block ×4, first 2 shown]
	v_mul_f64 v[127:128], v[12:13], s[44:45]
	v_mul_f64 v[129:130], v[12:13], s[24:25]
	v_mul_f64 v[131:132], v[12:13], s[54:55]
	v_mul_f64 v[133:134], v[12:13], s[48:49]
	v_mul_f64 v[135:136], v[12:13], s[40:41]
	v_mul_f64 v[137:138], v[12:13], s[26:27]
	v_mul_f64 v[139:140], v[12:13], s[34:35]
	v_add_f64 v[111:112], v[58:59], v[111:112]
	v_fma_f64 v[159:160], v[66:67], s[0:1], -v[32:33]
	v_fma_f64 v[163:164], v[66:67], s[12:13], -v[52:53]
	v_fma_f64 v[52:53], v[66:67], s[12:13], v[52:53]
	v_fma_f64 v[165:166], v[66:67], s[14:15], -v[56:57]
	v_fma_f64 v[171:172], v[66:67], s[22:23], -v[113:114]
	v_fma_f64 v[113:114], v[66:67], s[22:23], v[113:114]
	v_fma_f64 v[56:57], v[66:67], s[14:15], v[56:57]
	v_fma_f64 v[32:33], v[66:67], s[0:1], v[32:33]
	v_add_f64 v[58:59], v[14:15], v[58:59]
	v_mul_f64 v[12:13], v[12:13], s[28:29]
	s_mov_b32 s51, 0x3fe9895b
	s_mov_b32 s50, s24
	v_mul_f64 v[141:142], v[16:17], s[34:35]
	v_mul_f64 v[143:144], v[16:17], s[38:39]
	;; [unrolled: 1-line block ×4, first 2 shown]
	v_fma_f64 v[181:182], v[62:63], s[2:3], -v[115:116]
	v_fma_f64 v[115:116], v[62:63], s[2:3], v[115:116]
	v_fma_f64 v[183:184], v[62:63], s[12:13], -v[117:118]
	v_fma_f64 v[117:118], v[62:63], s[12:13], v[117:118]
	;; [unrolled: 2-line block ×6, first 2 shown]
	v_mul_f64 v[149:150], v[16:17], s[44:45]
	v_mul_f64 v[151:152], v[16:17], s[28:29]
	;; [unrolled: 1-line block ×4, first 2 shown]
	s_mov_b32 s47, 0x3fefdd0d
	s_mov_b32 s46, s34
	v_mul_f64 v[155:156], v[24:25], s[20:21]
	v_mul_f64 v[157:158], v[24:25], s[52:53]
	;; [unrolled: 1-line block ×3, first 2 shown]
	v_add_f64 v[111:112], v[54:55], v[111:112]
	v_add_f64 v[54:55], v[18:19], v[54:55]
	v_mul_f64 v[177:178], v[24:25], s[46:47]
	v_add_f64 v[52:53], v[52:53], v[2:3]
	v_mul_f64 v[179:180], v[24:25], s[26:27]
	v_mul_f64 v[197:198], v[28:29], s[28:29]
	v_add_f64 v[113:114], v[113:114], v[2:3]
	v_add_f64 v[56:57], v[56:57], v[2:3]
	v_fma_f64 v[199:200], v[58:59], s[6:7], -v[127:128]
	v_fma_f64 v[127:128], v[58:59], s[6:7], v[127:128]
	v_fma_f64 v[201:202], v[58:59], s[16:17], -v[129:130]
	v_fma_f64 v[129:130], v[58:59], s[16:17], v[129:130]
	;; [unrolled: 2-line block ×8, first 2 shown]
	v_add_f64 v[64:65], v[46:47], v[111:112]
	v_mul_f64 v[111:112], v[4:5], s[28:29]
	v_add_f64 v[46:47], v[46:47], v[26:27]
	v_add_f64 v[52:53], v[121:122], v[52:53]
	s_delay_alu instid0(VALU_DEP_4)
	v_add_f64 v[60:61], v[50:51], v[64:65]
	v_mul_f64 v[50:51], v[4:5], s[36:37]
	v_mul_f64 v[64:65], v[4:5], s[24:25]
	;; [unrolled: 1-line block ×3, first 2 shown]
	v_fma_f64 v[169:170], v[66:67], s[18:19], -v[111:112]
	v_fma_f64 v[111:112], v[66:67], s[18:19], v[111:112]
	v_add_f64 v[52:53], v[133:134], v[52:53]
	v_mul_f64 v[133:134], v[36:37], s[38:39]
	v_add_f64 v[38:39], v[38:39], v[60:61]
	v_mul_f64 v[60:61], v[8:9], s[52:53]
	v_mul_f64 v[8:9], v[8:9], s[42:43]
	v_fma_f64 v[161:162], v[66:67], s[2:3], -v[50:51]
	v_fma_f64 v[50:51], v[66:67], s[2:3], v[50:51]
	v_fma_f64 v[167:168], v[66:67], s[16:17], -v[64:65]
	v_fma_f64 v[64:65], v[66:67], s[16:17], v[64:65]
	v_fma_f64 v[173:174], v[66:67], s[6:7], v[4:5]
	v_fma_f64 v[4:5], v[66:67], s[6:7], -v[4:5]
	v_add_f64 v[111:112], v[111:112], v[2:3]
	v_mul_f64 v[66:67], v[24:25], s[44:45]
	v_add_f64 v[34:35], v[34:35], v[38:39]
	v_fma_f64 v[189:190], v[62:63], s[18:19], -v[60:61]
	v_fma_f64 v[60:61], v[62:63], s[18:19], v[60:61]
	v_fma_f64 v[195:196], v[62:63], s[0:1], -v[8:9]
	v_fma_f64 v[8:9], v[62:63], s[0:1], v[8:9]
	v_add_f64 v[62:63], v[159:160], v[2:3]
	v_add_f64 v[159:160], v[161:162], v[2:3]
	;; [unrolled: 1-line block ×13, first 2 shown]
	v_mul_f64 v[38:39], v[24:25], s[40:41]
	v_mul_f64 v[24:25], v[24:25], s[24:25]
	v_fma_f64 v[125:126], v[54:55], s[12:13], -v[141:142]
	v_fma_f64 v[141:142], v[54:55], s[12:13], v[141:142]
	v_mul_f64 v[32:33], v[28:29], s[24:25]
	v_mul_f64 v[173:174], v[28:29], s[26:27]
	v_add_f64 v[22:23], v[22:23], v[34:35]
	v_mul_f64 v[34:35], v[28:29], s[48:49]
	v_add_f64 v[56:57], v[60:61], v[56:57]
	v_add_f64 v[8:9], v[8:9], v[113:114]
	v_add_f64 v[58:59], v[181:182], v[62:63]
	v_add_f64 v[62:63], v[183:184], v[159:160]
	v_add_f64 v[50:51], v[117:118], v[50:51]
	v_add_f64 v[117:118], v[187:188], v[161:162]
	v_add_f64 v[121:122], v[189:190], v[163:164]
	v_add_f64 v[159:160], v[191:192], v[165:166]
	v_add_f64 v[64:65], v[123:124], v[64:65]
	v_add_f64 v[123:124], v[193:194], v[167:168]
	v_add_f64 v[161:162], v[195:196], v[169:170]
	v_add_f64 v[60:61], v[119:120], v[171:172]
	v_add_f64 v[4:5], v[185:186], v[4:5]
	v_add_f64 v[2:3], v[115:116], v[2:3]
	v_fma_f64 v[163:164], v[54:55], s[22:23], -v[143:144]
	v_fma_f64 v[143:144], v[54:55], s[22:23], v[143:144]
	v_fma_f64 v[165:166], v[54:55], s[14:15], -v[145:146]
	v_fma_f64 v[145:146], v[54:55], s[14:15], v[145:146]
	;; [unrolled: 2-line block ×7, first 2 shown]
	v_mul_f64 v[113:114], v[28:29], s[36:37]
	v_mul_f64 v[115:116], v[28:29], s[38:39]
	v_fma_f64 v[185:186], v[46:47], s[12:13], -v[177:178]
	v_fma_f64 v[177:178], v[46:47], s[12:13], v[177:178]
	v_fma_f64 v[187:188], v[46:47], s[0:1], -v[179:180]
	v_fma_f64 v[179:180], v[46:47], s[0:1], v[179:180]
	v_fma_f64 v[189:190], v[46:47], s[16:17], -v[24:25]
	v_add_f64 v[22:23], v[42:43], v[22:23]
	v_mul_f64 v[42:43], v[28:29], s[46:47]
	v_add_f64 v[56:57], v[135:136], v[56:57]
	v_mul_f64 v[28:29], v[28:29], s[30:31]
	v_add_f64 v[8:9], v[12:13], v[8:9]
	v_add_f64 v[54:55], v[199:200], v[58:59]
	;; [unrolled: 1-line block ×14, first 2 shown]
	v_fma_f64 v[135:136], v[46:47], s[14:15], -v[155:156]
	v_fma_f64 v[137:138], v[46:47], s[14:15], v[155:156]
	v_fma_f64 v[139:140], v[46:47], s[18:19], -v[157:158]
	v_fma_f64 v[155:156], v[46:47], s[18:19], v[157:158]
	;; [unrolled: 2-line block ×5, first 2 shown]
	v_fma_f64 v[24:25], v[46:47], s[16:17], v[24:25]
	v_add_f64 v[52:53], v[147:148], v[52:53]
	v_mul_f64 v[119:120], v[36:37], s[28:29]
	v_mul_f64 v[111:112], v[36:37], s[34:35]
	;; [unrolled: 1-line block ×4, first 2 shown]
	v_fma_f64 v[147:148], v[44:45], s[0:1], v[173:174]
	v_add_f64 v[22:23], v[30:31], v[22:23]
	v_mul_f64 v[30:31], v[36:37], s[30:31]
	v_add_f64 v[8:9], v[16:17], v[8:9]
	v_add_f64 v[46:47], v[125:126], v[54:55]
	;; [unrolled: 1-line block ×15, first 2 shown]
	v_fma_f64 v[141:142], v[44:45], s[16:17], -v[32:33]
	v_fma_f64 v[32:33], v[44:45], s[16:17], v[32:33]
	v_fma_f64 v[143:144], v[44:45], s[14:15], -v[34:35]
	v_fma_f64 v[34:35], v[44:45], s[14:15], v[34:35]
	v_fma_f64 v[145:146], v[44:45], s[0:1], -v[173:174]
	v_fma_f64 v[149:150], v[44:45], s[18:19], -v[197:198]
	v_fma_f64 v[151:152], v[44:45], s[18:19], v[197:198]
	v_fma_f64 v[153:154], v[44:45], s[12:13], -v[42:43]
	v_fma_f64 v[42:43], v[44:45], s[12:13], v[42:43]
	;; [unrolled: 2-line block ×5, first 2 shown]
	v_add_f64 v[52:53], v[66:67], v[52:53]
	v_mul_f64 v[60:61], v[20:21], s[38:39]
	v_mul_f64 v[125:126], v[20:21], s[42:43]
	;; [unrolled: 1-line block ×3, first 2 shown]
	v_add_f64 v[22:23], v[26:27], v[22:23]
	v_mul_f64 v[26:27], v[36:37], s[40:41]
	v_mul_f64 v[36:37], v[36:37], s[20:21]
	v_add_f64 v[8:9], v[24:25], v[8:9]
	v_add_f64 v[44:45], v[135:136], v[46:47]
	;; [unrolled: 1-line block ×15, first 2 shown]
	v_mul_f64 v[38:39], v[20:21], s[24:25]
	v_mul_f64 v[56:57], v[20:21], s[30:31]
	;; [unrolled: 1-line block ×3, first 2 shown]
	v_fma_f64 v[123:124], v[48:49], s[18:19], -v[119:120]
	v_fma_f64 v[119:120], v[48:49], s[18:19], v[119:120]
	v_fma_f64 v[135:136], v[48:49], s[6:7], -v[30:31]
	v_fma_f64 v[30:31], v[48:49], s[6:7], v[30:31]
	;; [unrolled: 2-line block ×6, first 2 shown]
	v_add_f64 v[18:19], v[18:19], v[22:23]
	v_mul_f64 v[22:23], v[20:21], s[40:41]
	v_mul_f64 v[20:21], v[20:21], s[46:47]
	v_fma_f64 v[159:160], v[48:49], s[2:3], -v[26:27]
	v_fma_f64 v[26:27], v[48:49], s[2:3], v[26:27]
	v_fma_f64 v[161:162], v[48:49], s[14:15], -v[36:37]
	v_fma_f64 v[36:37], v[48:49], s[14:15], v[36:37]
	v_add_f64 v[44:45], v[141:142], v[44:45]
	v_add_f64 v[46:47], v[143:144], v[46:47]
	;; [unrolled: 1-line block ×16, first 2 shown]
	v_fma_f64 v[28:29], v[40:41], s[22:23], v[60:61]
	v_fma_f64 v[32:33], v[40:41], s[0:1], -v[125:126]
	v_fma_f64 v[42:43], v[40:41], s[0:1], v[125:126]
	v_fma_f64 v[66:67], v[40:41], s[18:19], v[129:130]
	v_fma_f64 v[115:116], v[40:41], s[16:17], -v[38:39]
	v_fma_f64 v[38:39], v[40:41], s[16:17], v[38:39]
	v_fma_f64 v[117:118], v[40:41], s[6:7], -v[56:57]
	;; [unrolled: 2-line block ×3, first 2 shown]
	v_fma_f64 v[121:122], v[40:41], s[14:15], v[121:122]
	v_add_f64 v[14:15], v[14:15], v[18:19]
	v_fma_f64 v[18:19], v[40:41], s[22:23], -v[60:61]
	v_fma_f64 v[60:61], v[40:41], s[18:19], -v[129:130]
	;; [unrolled: 1-line block ×3, first 2 shown]
	v_fma_f64 v[22:23], v[40:41], s[2:3], v[22:23]
	v_fma_f64 v[129:130], v[40:41], s[12:13], -v[20:21]
	v_fma_f64 v[20:21], v[40:41], s[12:13], v[20:21]
	v_add_f64 v[40:41], v[123:124], v[44:45]
	v_add_f64 v[44:45], v[135:136], v[46:47]
	;; [unrolled: 1-line block ×34, first 2 shown]
	v_lshlrev_b32_e32 v10, 7, v96
	s_delay_alu instid0(VALU_DEP_1)
	v_add3_u32 v10, v97, v10, v102
	ds_store_2addr_b64 v10, v[30:31], v[32:33] offset0:4 offset1:5
	ds_store_2addr_b64 v10, v[34:35], v[40:41] offset0:6 offset1:7
	;; [unrolled: 1-line block ×7, first 2 shown]
	ds_store_2addr_b64 v10, v[6:7], v[14:15] offset1:1
	ds_store_b64 v10, v[2:3] offset:128
.LBB0_14:
	s_or_b32 exec_lo, exec_lo, s33
	v_add_nc_u32_e32 v48, 0x44, v96
	v_and_b32_e32 v2, 0xff, v96
	v_add_nc_u32_e32 v50, 0x88, v96
	v_add_nc_u32_e32 v49, 0xcc, v96
	s_waitcnt lgkmcnt(0)
	v_and_b32_e32 v3, 0xff, v48
	v_mul_lo_u16 v2, 0xf1, v2
	v_and_b32_e32 v67, 0xff, v50
	v_and_b32_e32 v4, 0xffff, v49
	s_barrier
	v_mul_lo_u16 v3, 0xf1, v3
	v_lshrrev_b16 v97, 12, v2
	v_mul_lo_u16 v2, 0xf1, v67
	v_mul_u32_u24_e32 v147, 0xf0f1, v4
	buffer_gl0_inv
	v_lshrrev_b16 v148, 12, v3
	v_mul_lo_u16 v3, v97, 17
	v_lshrrev_b16 v149, 12, v2
	v_lshrrev_b32_e32 v150, 20, v147
	s_delay_alu instid0(VALU_DEP_4) | instskip(NEXT) | instid1(VALU_DEP_4)
	v_mul_lo_u16 v2, v148, 17
	v_sub_nc_u16 v3, v96, v3
	s_delay_alu instid0(VALU_DEP_4) | instskip(NEXT) | instid1(VALU_DEP_4)
	v_mul_lo_u16 v4, v149, 17
	v_mul_lo_u16 v5, v150, 17
	s_delay_alu instid0(VALU_DEP_4) | instskip(NEXT) | instid1(VALU_DEP_4)
	v_sub_nc_u16 v2, v48, v2
	v_and_b32_e32 v151, 0xff, v3
	s_delay_alu instid0(VALU_DEP_4) | instskip(NEXT) | instid1(VALU_DEP_4)
	v_sub_nc_u16 v3, v50, v4
	v_sub_nc_u16 v4, v49, v5
	s_delay_alu instid0(VALU_DEP_4) | instskip(NEXT) | instid1(VALU_DEP_4)
	v_and_b32_e32 v152, 0xff, v2
	v_mul_u32_u24_e32 v2, 3, v151
	s_delay_alu instid0(VALU_DEP_4) | instskip(NEXT) | instid1(VALU_DEP_4)
	v_and_b32_e32 v153, 0xff, v3
	v_and_b32_e32 v154, 0xffff, v4
	s_delay_alu instid0(VALU_DEP_4) | instskip(NEXT) | instid1(VALU_DEP_4)
	v_mul_u32_u24_e32 v3, 3, v152
	v_lshlrev_b32_e32 v10, 4, v2
	s_delay_alu instid0(VALU_DEP_4) | instskip(NEXT) | instid1(VALU_DEP_4)
	v_mul_u32_u24_e32 v11, 3, v153
	v_mul_u32_u24_e32 v12, 3, v154
	s_delay_alu instid0(VALU_DEP_4)
	v_lshlrev_b32_e32 v22, 4, v3
	s_clause 0x1
	global_load_b128 v[2:5], v10, s[4:5] offset:16
	global_load_b128 v[6:9], v10, s[4:5]
	v_lshlrev_b32_e32 v34, 4, v11
	v_lshlrev_b32_e32 v46, 4, v12
	s_clause 0x9
	global_load_b128 v[10:13], v10, s[4:5] offset:32
	global_load_b128 v[14:17], v22, s[4:5]
	global_load_b128 v[18:21], v22, s[4:5] offset:16
	global_load_b128 v[22:25], v22, s[4:5] offset:32
	global_load_b128 v[26:29], v34, s[4:5]
	global_load_b128 v[30:33], v34, s[4:5] offset:16
	;; [unrolled: 3-line block ×3, first 2 shown]
	global_load_b128 v[51:54], v46, s[4:5] offset:32
	ds_load_2addr_b64 v[55:58], v108 offset0:76 offset1:144
	ds_load_2addr_b64 v[59:62], v110 offset0:92 offset1:160
	;; [unrolled: 1-line block ×6, first 2 shown]
	ds_load_b64 v[46:47], v103 offset:8160
	s_waitcnt vmcnt(9) lgkmcnt(4)
	v_mul_f64 v[127:128], v[65:66], v[12:13]
	s_waitcnt vmcnt(8) lgkmcnt(3)
	v_mul_f64 v[129:130], v[111:112], v[16:17]
	;; [unrolled: 2-line block ×4, first 2 shown]
	s_waitcnt vmcnt(5)
	v_mul_f64 v[135:136], v[113:114], v[28:29]
	s_waitcnt vmcnt(4)
	v_mul_f64 v[137:138], v[117:118], v[32:33]
	;; [unrolled: 2-line block ×3, first 2 shown]
	v_mul_f64 v[123:124], v[57:58], v[8:9]
	v_mul_f64 v[125:126], v[61:62], v[4:5]
	;; [unrolled: 1-line block ×8, first 2 shown]
	s_waitcnt vmcnt(2)
	v_mul_f64 v[141:142], v[59:60], v[40:41]
	s_waitcnt vmcnt(1)
	v_mul_f64 v[143:144], v[63:64], v[44:45]
	s_waitcnt vmcnt(0) lgkmcnt(0)
	v_mul_f64 v[145:146], v[46:47], v[53:54]
	v_mul_f64 v[28:29], v[86:87], v[28:29]
	;; [unrolled: 1-line block ×7, first 2 shown]
	v_fma_f64 v[82:83], v[82:83], v[10:11], v[127:128]
	v_fma_f64 v[84:85], v[84:85], v[14:15], v[129:130]
	;; [unrolled: 1-line block ×9, first 2 shown]
	v_fma_f64 v[6:7], v[57:58], v[6:7], -v[8:9]
	v_fma_f64 v[8:9], v[61:62], v[2:3], -v[4:5]
	;; [unrolled: 1-line block ×6, first 2 shown]
	v_fma_f64 v[76:77], v[76:77], v[38:39], v[141:142]
	v_fma_f64 v[80:81], v[80:81], v[42:43], v[143:144]
	;; [unrolled: 1-line block ×3, first 2 shown]
	v_fma_f64 v[18:19], v[113:114], v[26:27], -v[28:29]
	v_fma_f64 v[20:21], v[117:118], v[30:31], -v[32:33]
	;; [unrolled: 1-line block ×6, first 2 shown]
	ds_load_b64 v[30:31], v104
	ds_load_2addr_b64 v[2:5], v103 offset0:68 offset1:136
	s_waitcnt lgkmcnt(0)
	s_barrier
	buffer_gl0_inv
	v_add_f64 v[36:37], v[68:69], -v[88:89]
	v_add_f64 v[38:39], v[84:85], -v[92:93]
	;; [unrolled: 1-line block ×12, first 2 shown]
	v_mad_u32_u24 v80, 0x220, v150, 0
	v_add_f64 v[20:21], v[4:5], -v[20:21]
	v_add_f64 v[22:23], v[18:19], -v[22:23]
	;; [unrolled: 1-line block ×4, first 2 shown]
	v_fma_f64 v[53:54], v[68:69], 2.0, -v[36:37]
	v_fma_f64 v[57:58], v[84:85], 2.0, -v[38:39]
	v_lshlrev_b32_e32 v84, 3, v152
	v_fma_f64 v[59:60], v[70:71], 2.0, -v[40:41]
	v_fma_f64 v[61:62], v[86:87], 2.0, -v[42:43]
	;; [unrolled: 1-line block ×4, first 2 shown]
	v_mul_u32_u24_e32 v75, 3, v96
	v_fma_f64 v[30:31], v[30:31], 2.0, -v[8:9]
	v_fma_f64 v[6:7], v[6:7], 2.0, -v[10:11]
	v_add_f64 v[10:11], v[32:33], v[10:11]
	v_fma_f64 v[2:3], v[2:3], 2.0, -v[14:15]
	v_fma_f64 v[12:13], v[12:13], 2.0, -v[16:17]
	v_add_f64 v[16:17], v[36:37], v[16:17]
	v_fma_f64 v[63:64], v[72:73], 2.0, -v[44:45]
	v_fma_f64 v[65:66], v[76:77], 2.0, -v[46:47]
	v_mul_lo_u16 v76, 0x79, v67
	v_fma_f64 v[4:5], v[4:5], 2.0, -v[20:21]
	v_fma_f64 v[18:19], v[18:19], 2.0, -v[22:23]
	v_add_f64 v[34:35], v[8:9], -v[34:35]
	v_fma_f64 v[55:56], v[55:56], 2.0, -v[26:27]
	v_fma_f64 v[24:25], v[24:25], 2.0, -v[28:29]
	v_add_f64 v[28:29], v[44:45], v[28:29]
	v_add_f64 v[38:39], v[14:15], -v[38:39]
	v_add_f64 v[22:23], v[40:41], v[22:23]
	v_add_f64 v[42:43], v[20:21], -v[42:43]
	v_add_f64 v[46:47], v[26:27], -v[46:47]
	v_lshlrev_b32_e32 v79, 4, v75
	v_lshrrev_b32_e32 v75, 22, v147
	v_lshlrev_b32_e32 v85, 3, v153
	v_lshlrev_b32_e32 v86, 3, v154
	s_delay_alu instid0(VALU_DEP_1)
	v_add3_u32 v80, v80, v86, v102
	v_add_f64 v[57:58], v[53:54], -v[57:58]
	v_add_f64 v[61:62], v[59:60], -v[61:62]
	;; [unrolled: 1-line block ×4, first 2 shown]
	v_lshrrev_b16 v7, 13, v76
	v_dual_mov_b32 v97, 0 :: v_dual_and_b32 v6, 0xffff, v97
	v_add_f64 v[69:70], v[2:3], -v[12:13]
	v_fma_f64 v[12:13], v[36:37], 2.0, -v[16:17]
	v_add_f64 v[65:66], v[63:64], -v[65:66]
	v_mul_lo_u16 v77, 0x44, v7
	v_mad_u32_u24 v76, 0x220, v6, 0
	v_add_f64 v[71:72], v[4:5], -v[18:19]
	v_fma_f64 v[6:7], v[32:33], 2.0, -v[10:11]
	v_add_f64 v[73:74], v[55:56], -v[24:25]
	v_fma_f64 v[36:37], v[44:45], 2.0, -v[28:29]
	v_mul_lo_u16 v44, 0x44, v75
	v_and_b32_e32 v45, 0xffff, v148
	v_fma_f64 v[18:19], v[40:41], 2.0, -v[22:23]
	s_delay_alu instid0(VALU_DEP_3) | instskip(NEXT) | instid1(VALU_DEP_3)
	v_sub_nc_u16 v44, v49, v44
	v_mad_u32_u24 v81, 0x220, v45, 0
	s_delay_alu instid0(VALU_DEP_2) | instskip(SKIP_1) | instid1(VALU_DEP_3)
	v_and_b32_e32 v141, 0xffff, v44
	v_fma_f64 v[44:45], v[8:9], 2.0, -v[34:35]
	v_add3_u32 v81, v81, v84, v102
	s_delay_alu instid0(VALU_DEP_3)
	v_mul_u32_u24_e32 v88, 3, v141
	v_fma_f64 v[24:25], v[53:54], 2.0, -v[57:58]
	v_and_b32_e32 v53, 0xffff, v149
	v_sub_nc_u16 v54, v50, v77
	v_fma_f64 v[32:33], v[59:60], 2.0, -v[61:62]
	v_lshlrev_b32_e32 v59, 3, v151
	v_fma_f64 v[0:1], v[0:1], 2.0, -v[51:52]
	v_mad_u32_u24 v82, 0x220, v53, 0
	v_and_b32_e32 v95, 0xff, v54
	v_fma_f64 v[30:31], v[30:31], 2.0, -v[67:68]
	v_add3_u32 v83, v76, v59, v102
	v_fma_f64 v[53:54], v[14:15], 2.0, -v[38:39]
	v_fma_f64 v[77:78], v[26:27], 2.0, -v[46:47]
	;; [unrolled: 1-line block ×3, first 2 shown]
	v_mul_u32_u24_e32 v87, 3, v95
	v_fma_f64 v[40:41], v[63:64], 2.0, -v[65:66]
	v_fma_f64 v[63:64], v[20:21], 2.0, -v[42:43]
	v_add3_u32 v82, v82, v85, v102
	v_fma_f64 v[75:76], v[4:5], 2.0, -v[71:72]
	ds_store_2addr_b64 v83, v[51:52], v[10:11] offset0:34 offset1:51
	ds_store_2addr_b64 v83, v[0:1], v[6:7] offset1:17
	ds_store_2addr_b64 v81, v[57:58], v[16:17] offset0:34 offset1:51
	ds_store_2addr_b64 v81, v[24:25], v[12:13] offset1:17
	ds_store_2addr_b64 v82, v[32:33], v[18:19] offset1:17
	ds_store_2addr_b64 v82, v[61:62], v[22:23] offset0:34 offset1:51
	ds_store_2addr_b64 v80, v[40:41], v[36:37] offset1:17
	ds_store_2addr_b64 v80, v[65:66], v[28:29] offset0:34 offset1:51
	v_fma_f64 v[55:56], v[55:56], 2.0, -v[73:74]
	s_waitcnt lgkmcnt(0)
	s_barrier
	buffer_gl0_inv
	ds_load_2addr_b64 v[0:3], v108 offset0:76 offset1:144
	ds_load_2addr_b64 v[4:7], v110 offset0:92 offset1:160
	;; [unrolled: 1-line block ×7, first 2 shown]
	ds_load_b64 v[91:92], v104
	ds_load_b64 v[93:94], v103 offset:8160
	s_waitcnt lgkmcnt(0)
	s_barrier
	buffer_gl0_inv
	ds_store_2addr_b64 v83, v[30:31], v[44:45] offset1:17
	ds_store_2addr_b64 v83, v[67:68], v[34:35] offset0:34 offset1:51
	ds_store_2addr_b64 v81, v[59:60], v[53:54] offset1:17
	ds_store_2addr_b64 v81, v[69:70], v[38:39] offset0:34 offset1:51
	ds_store_2addr_b64 v82, v[75:76], v[63:64] offset1:17
	ds_store_2addr_b64 v82, v[71:72], v[42:43] offset0:34 offset1:51
	ds_store_2addr_b64 v80, v[55:56], v[77:78] offset1:17
	ds_store_2addr_b64 v80, v[73:74], v[46:47] offset0:34 offset1:51
	s_waitcnt lgkmcnt(0)
	s_barrier
	buffer_gl0_inv
	s_clause 0x2
	global_load_b128 v[28:31], v79, s[4:5] offset:832
	global_load_b128 v[32:35], v79, s[4:5] offset:816
	global_load_b128 v[36:39], v79, s[4:5] offset:848
	v_lshlrev_b32_e32 v51, 4, v87
	v_lshlrev_b32_e32 v63, 4, v88
	s_clause 0x5
	global_load_b128 v[40:43], v51, s[4:5] offset:816
	global_load_b128 v[44:47], v51, s[4:5] offset:832
	;; [unrolled: 1-line block ×6, first 2 shown]
	ds_load_2addr_b64 v[67:70], v108 offset0:76 offset1:144
	ds_load_2addr_b64 v[71:74], v110 offset0:92 offset1:160
	ds_load_2addr_b64 v[75:78], v109 offset0:108 offset1:176
	ds_load_2addr_b64 v[79:82], v106 offset0:84 offset1:152
	ds_load_2addr_b64 v[83:86], v105 offset0:100 offset1:168
	ds_load_2addr_b64 v[87:90], v107 offset0:116 offset1:184
	ds_load_b64 v[100:101], v103 offset:8160
	s_waitcnt vmcnt(8)
	v_mul_f64 v[137:138], v[6:7], v[30:31]
	s_waitcnt vmcnt(7)
	v_mul_f64 v[135:136], v[2:3], v[34:35]
	;; [unrolled: 2-line block ×3, first 2 shown]
	s_waitcnt lgkmcnt(6)
	v_mul_f64 v[111:112], v[69:70], v[34:35]
	s_waitcnt lgkmcnt(5)
	v_mul_f64 v[113:114], v[73:74], v[30:31]
	;; [unrolled: 2-line block ×6, first 2 shown]
	v_mul_f64 v[34:35], v[16:17], v[34:35]
	v_mul_f64 v[30:31], v[20:21], v[30:31]
	;; [unrolled: 1-line block ×3, first 2 shown]
	s_waitcnt vmcnt(5)
	v_mul_f64 v[123:124], v[81:82], v[42:43]
	s_waitcnt vmcnt(4)
	v_mul_f64 v[125:126], v[85:86], v[46:47]
	;; [unrolled: 2-line block ×3, first 2 shown]
	v_mul_f64 v[42:43], v[18:19], v[42:43]
	v_mul_f64 v[46:47], v[22:23], v[46:47]
	;; [unrolled: 1-line block ×3, first 2 shown]
	s_waitcnt vmcnt(2)
	v_mul_f64 v[129:130], v[71:72], v[57:58]
	s_waitcnt vmcnt(1)
	v_mul_f64 v[131:132], v[75:76], v[61:62]
	s_waitcnt vmcnt(0) lgkmcnt(0)
	v_mul_f64 v[133:134], v[100:101], v[65:66]
	v_mul_f64 v[57:58], v[4:5], v[57:58]
	;; [unrolled: 1-line block ×4, first 2 shown]
	v_fma_f64 v[73:74], v[73:74], v[28:29], -v[137:138]
	v_fma_f64 v[69:70], v[69:70], v[32:33], -v[135:136]
	;; [unrolled: 1-line block ×3, first 2 shown]
	v_fma_f64 v[111:112], v[2:3], v[32:33], v[111:112]
	v_fma_f64 v[6:7], v[6:7], v[28:29], v[113:114]
	v_fma_f64 v[10:11], v[10:11], v[36:37], v[115:116]
	v_fma_f64 v[16:17], v[16:17], v[32:33], v[117:118]
	v_fma_f64 v[20:21], v[20:21], v[28:29], v[119:120]
	v_fma_f64 v[24:25], v[24:25], v[36:37], v[121:122]
	v_fma_f64 v[32:33], v[79:80], v[32:33], -v[34:35]
	v_fma_f64 v[28:29], v[83:84], v[28:29], -v[30:31]
	;; [unrolled: 1-line block ×3, first 2 shown]
	v_fma_f64 v[18:19], v[18:19], v[40:41], v[123:124]
	v_fma_f64 v[22:23], v[22:23], v[44:45], v[125:126]
	;; [unrolled: 1-line block ×3, first 2 shown]
	v_fma_f64 v[34:35], v[81:82], v[40:41], -v[42:43]
	v_fma_f64 v[36:37], v[85:86], v[44:45], -v[46:47]
	;; [unrolled: 1-line block ×3, first 2 shown]
	v_fma_f64 v[113:114], v[4:5], v[55:56], v[129:130]
	v_fma_f64 v[8:9], v[8:9], v[59:60], v[131:132]
	;; [unrolled: 1-line block ×3, first 2 shown]
	v_fma_f64 v[40:41], v[71:72], v[55:56], -v[57:58]
	v_fma_f64 v[42:43], v[75:76], v[59:60], -v[61:62]
	;; [unrolled: 1-line block ×3, first 2 shown]
	ds_load_b64 v[46:47], v104
	ds_load_2addr_b64 v[2:5], v103 offset0:68 offset1:136
	s_waitcnt lgkmcnt(0)
	s_barrier
	buffer_gl0_inv
	v_add_f64 v[55:56], v[69:70], -v[77:78]
	v_add_f64 v[6:7], v[91:92], -v[6:7]
	;; [unrolled: 1-line block ×16, first 2 shown]
	v_fma_f64 v[44:45], v[91:92], 2.0, -v[6:7]
	v_fma_f64 v[63:64], v[46:47], 2.0, -v[53:54]
	;; [unrolled: 1-line block ×8, first 2 shown]
	v_add_f64 v[69:70], v[53:54], -v[10:11]
	v_fma_f64 v[14:15], v[14:15], 2.0, -v[22:23]
	v_fma_f64 v[18:19], v[18:19], 2.0, -v[26:27]
	v_add_f64 v[71:72], v[28:29], -v[24:25]
	v_fma_f64 v[4:5], v[4:5], 2.0, -v[36:37]
	v_fma_f64 v[34:35], v[34:35], 2.0, -v[38:39]
	v_add_f64 v[55:56], v[6:7], v[55:56]
	v_fma_f64 v[0:1], v[0:1], 2.0, -v[8:9]
	v_fma_f64 v[61:62], v[113:114], 2.0, -v[51:52]
	v_add_f64 v[30:31], v[20:21], v[30:31]
	;; [unrolled: 3-line block ×3, first 2 shown]
	v_add_f64 v[75:76], v[36:37], -v[26:27]
	v_add_f64 v[51:52], v[57:58], -v[51:52]
	v_add_f64 v[67:68], v[8:9], v[42:43]
	v_lshlrev_b64 v[10:11], 4, v[96:97]
	v_lshlrev_b32_e32 v24, 3, v95
	v_lshlrev_b32_e32 v25, 3, v141
	s_delay_alu instid0(VALU_DEP_2) | instskip(NEXT) | instid1(VALU_DEP_2)
	v_add3_u32 v24, 0, v24, v102
	v_add3_u32 v25, 0, v25, v102
	s_delay_alu instid0(VALU_DEP_2) | instskip(NEXT) | instid1(VALU_DEP_2)
	v_add_nc_u32_e32 v87, 0x1000, v24
	v_add_nc_u32_e32 v88, 0x1800, v25
	v_add_f64 v[73:74], v[63:64], -v[46:47]
	v_add_f64 v[59:60], v[44:45], -v[59:60]
	;; [unrolled: 1-line block ×4, first 2 shown]
	v_fma_f64 v[53:54], v[53:54], 2.0, -v[69:70]
	v_add_f64 v[18:19], v[14:15], -v[18:19]
	v_fma_f64 v[28:29], v[28:29], 2.0, -v[71:72]
	v_add_f64 v[34:35], v[4:5], -v[34:35]
	;; [unrolled: 2-line block ×3, first 2 shown]
	v_add_f64 v[77:78], v[65:66], -v[40:41]
	v_add_co_u32 v40, s0, s4, v10
	s_delay_alu instid0(VALU_DEP_1)
	v_add_co_ci_u32_e64 v41, s0, s5, v11, s0
	v_fma_f64 v[10:11], v[20:21], 2.0, -v[30:31]
	v_fma_f64 v[20:21], v[22:23], 2.0, -v[38:39]
	;; [unrolled: 1-line block ×5, first 2 shown]
	v_add_co_u32 v42, s0, 0x440, v40
	s_delay_alu instid0(VALU_DEP_1) | instskip(SKIP_1) | instid1(VALU_DEP_1)
	v_add_co_ci_u32_e64 v43, s0, 0, v41, s0
	v_add_co_u32 v46, s0, 0x880, v40
	v_add_co_ci_u32_e64 v47, s0, 0, v41, s0
	v_fma_f64 v[63:64], v[63:64], 2.0, -v[73:74]
	v_fma_f64 v[22:23], v[44:45], 2.0, -v[59:60]
	v_add_co_u32 v44, s0, 0xcc0, v40
	v_fma_f64 v[12:13], v[12:13], 2.0, -v[16:17]
	v_fma_f64 v[79:80], v[2:3], 2.0, -v[32:33]
	v_add_co_ci_u32_e64 v45, s0, 0, v41, s0
	v_fma_f64 v[14:15], v[14:15], 2.0, -v[18:19]
	v_fma_f64 v[81:82], v[4:5], 2.0, -v[34:35]
	;; [unrolled: 1-line block ×3, first 2 shown]
	ds_store_2addr_b64 v103, v[59:60], v[55:56] offset0:136 offset1:204
	ds_store_2addr_b64 v106, v[16:17], v[30:31] offset0:152 offset1:220
	;; [unrolled: 1-line block ×4, first 2 shown]
	ds_store_2addr_b64 v103, v[22:23], v[6:7] offset1:68
	ds_store_2addr_b64 v106, v[12:13], v[10:11] offset0:16 offset1:84
	ds_store_2addr_b64 v87, v[14:15], v[20:21] offset0:32 offset1:100
	;; [unrolled: 1-line block ×3, first 2 shown]
	v_fma_f64 v[65:66], v[65:66], 2.0, -v[77:78]
	s_waitcnt lgkmcnt(0)
	s_barrier
	buffer_gl0_inv
	ds_load_2addr_b64 v[0:3], v110 offset0:92 offset1:160
	ds_load_2addr_b64 v[4:7], v103 offset0:68 offset1:136
	;; [unrolled: 1-line block ×7, first 2 shown]
	ds_load_b64 v[83:84], v104
	ds_load_b64 v[85:86], v103 offset:8160
	s_waitcnt lgkmcnt(0)
	s_barrier
	buffer_gl0_inv
	ds_store_2addr_b64 v103, v[63:64], v[53:54] offset1:68
	ds_store_2addr_b64 v103, v[73:74], v[69:70] offset0:136 offset1:204
	ds_store_2addr_b64 v106, v[79:80], v[28:29] offset0:16 offset1:84
	;; [unrolled: 1-line block ×7, first 2 shown]
	s_waitcnt lgkmcnt(0)
	s_barrier
	buffer_gl0_inv
	s_clause 0x3
	global_load_b128 v[28:31], v[40:41], off offset:4080
	global_load_b128 v[32:35], v[42:43], off offset:4080
	;; [unrolled: 1-line block ×4, first 2 shown]
	ds_load_2addr_b64 v[55:58], v110 offset0:92 offset1:160
	ds_load_2addr_b64 v[59:62], v105 offset0:100 offset1:168
	;; [unrolled: 1-line block ×4, first 2 shown]
	ds_load_b64 v[71:72], v103 offset:8160
	s_waitcnt vmcnt(3) lgkmcnt(4)
	v_mul_f64 v[73:74], v[57:58], v[30:31]
	s_waitcnt vmcnt(2) lgkmcnt(3)
	v_mul_f64 v[75:76], v[59:60], v[34:35]
	s_waitcnt vmcnt(1)
	v_mul_f64 v[77:78], v[61:62], v[38:39]
	s_waitcnt vmcnt(0) lgkmcnt(2)
	v_mul_f64 v[79:80], v[63:64], v[53:54]
	v_mul_f64 v[81:82], v[65:66], v[30:31]
	s_waitcnt lgkmcnt(1)
	v_mul_f64 v[87:88], v[67:68], v[34:35]
	v_mul_f64 v[89:90], v[69:70], v[38:39]
	s_waitcnt lgkmcnt(0)
	v_mul_f64 v[91:92], v[71:72], v[53:54]
	v_mul_f64 v[93:94], v[2:3], v[30:31]
	;; [unrolled: 1-line block ×9, first 2 shown]
	v_fma_f64 v[2:3], v[2:3], v[28:29], v[73:74]
	v_fma_f64 v[8:9], v[8:9], v[32:33], v[75:76]
	;; [unrolled: 1-line block ×8, first 2 shown]
	v_fma_f64 v[57:58], v[57:58], v[28:29], -v[93:94]
	v_fma_f64 v[59:60], v[59:60], v[32:33], -v[100:101]
	;; [unrolled: 1-line block ×8, first 2 shown]
	ds_load_b64 v[36:37], v104
	v_add_f64 v[2:3], v[83:84], -v[2:3]
	v_add_f64 v[38:39], v[4:5], -v[8:9]
	;; [unrolled: 1-line block ×8, first 2 shown]
	ds_load_2addr_b64 v[8:11], v103 offset0:68 offset1:136
	ds_load_2addr_b64 v[16:19], v108 offset0:76 offset1:144
	;; [unrolled: 1-line block ×3, first 2 shown]
	s_waitcnt lgkmcnt(3)
	v_add_f64 v[57:58], v[36:37], -v[57:58]
	s_waitcnt lgkmcnt(0)
	s_barrier
	buffer_gl0_inv
	v_add_f64 v[34:35], v[55:56], -v[34:35]
	v_add_f64 v[59:60], v[8:9], -v[59:60]
	;; [unrolled: 1-line block ×7, first 2 shown]
	v_fma_f64 v[73:74], v[83:84], 2.0, -v[2:3]
	v_fma_f64 v[4:5], v[4:5], 2.0, -v[38:39]
	;; [unrolled: 1-line block ×8, first 2 shown]
	ds_store_2addr_b64 v106, v[2:3], v[38:39] offset0:16 offset1:84
	ds_store_2addr_b64 v106, v[51:52], v[53:54] offset0:152 offset1:220
	;; [unrolled: 1-line block ×4, first 2 shown]
	ds_store_2addr_b64 v103, v[73:74], v[4:5] offset1:68
	ds_store_2addr_b64 v103, v[6:7], v[12:13] offset0:136 offset1:204
	ds_store_2addr_b64 v105, v[14:15], v[20:21] offset0:32 offset1:100
	;; [unrolled: 1-line block ×3, first 2 shown]
	v_fma_f64 v[75:76], v[36:37], 2.0, -v[57:58]
	v_fma_f64 v[77:78], v[8:9], 2.0, -v[59:60]
	;; [unrolled: 1-line block ×8, first 2 shown]
	s_waitcnt lgkmcnt(0)
	s_barrier
	buffer_gl0_inv
	ds_load_2addr_b64 v[0:3], v110 offset0:92 offset1:160
	ds_load_2addr_b64 v[12:15], v103 offset0:68 offset1:136
	;; [unrolled: 1-line block ×7, first 2 shown]
	ds_load_b64 v[36:37], v104
	ds_load_b64 v[38:39], v103 offset:8160
	s_waitcnt lgkmcnt(0)
	s_barrier
	buffer_gl0_inv
	ds_store_2addr_b64 v103, v[75:76], v[77:78] offset1:68
	ds_store_2addr_b64 v106, v[57:58], v[59:60] offset0:16 offset1:84
	ds_store_2addr_b64 v103, v[79:80], v[81:82] offset0:136 offset1:204
	;; [unrolled: 1-line block ×7, first 2 shown]
	s_waitcnt lgkmcnt(0)
	s_barrier
	buffer_gl0_inv
	s_and_saveexec_b32 s0, vcc_lo
	s_cbranch_execz .LBB0_16
; %bb.15:
	v_add_co_u32 v63, vcc_lo, 0x3000, v40
	v_add_co_ci_u32_e32 v64, vcc_lo, 0, v41, vcc_lo
	v_add_co_u32 v51, vcc_lo, 0x2000, v46
	v_add_co_ci_u32_e32 v52, vcc_lo, 0, v47, vcc_lo
	;; [unrolled: 2-line block ×5, first 2 shown]
	s_clause 0x7
	global_load_b128 v[28:31], v[63:64], off offset:3760
	global_load_b128 v[32:35], v[63:64], off offset:2672
	;; [unrolled: 1-line block ×8, first 2 shown]
	v_add_nc_u32_e32 v139, 0x2ec, v96
	v_add_nc_u32_e32 v71, 0xc00, v103
	;; [unrolled: 1-line block ×5, first 2 shown]
	v_mad_u64_u32 v[116:117], null, s8, v139, 0
	v_add_nc_u32_e32 v140, 0x330, v96
	ds_load_2addr_b64 v[67:70], v103 offset0:68 offset1:136
	v_add_nc_u32_e32 v91, 0x1000, v103
	v_mad_u64_u32 v[108:109], null, s8, v49, 0
	v_mad_u64_u32 v[120:121], null, s8, v140, 0
	v_add_nc_u32_e32 v75, 0x800, v103
	ds_load_b64 v[100:101], v103 offset:8160
	ds_load_b64 v[102:103], v104
	v_mad_u64_u32 v[104:105], null, s8, v96, 0
	v_add_nc_u32_e32 v132, 0x220, v96
	v_add_nc_u32_e32 v136, 0x154, v96
	v_mad_u64_u32 v[106:107], null, s8, v50, 0
	v_add_nc_u32_e32 v133, 0x264, v96
	v_add_co_u32 v146, vcc_lo, s10, v98
	v_mov_b32_e32 v95, v105
	v_mov_b32_e32 v105, v109
	v_mad_u64_u32 v[110:111], null, s8, v132, 0
	v_add_nc_u32_e32 v134, 0x2a8, v96
	v_mad_u64_u32 v[97:98], null, s8, v48, 0
	v_mad_u64_u32 v[126:127], null, s9, v96, v[95:96]
	;; [unrolled: 1-line block ×3, first 2 shown]
	v_mov_b32_e32 v95, v111
	v_mad_u64_u32 v[114:115], null, s8, v134, 0
	v_add_nc_u32_e32 v138, 0x1dc, v96
	v_add_co_ci_u32_e32 v147, vcc_lo, s11, v99, vcc_lo
	v_mov_b32_e32 v99, v107
	v_add_nc_u32_e32 v137, 0x198, v96
	v_add_nc_u32_e32 v135, 0x110, v96
	;; [unrolled: 1-line block ×3, first 2 shown]
	v_mad_u64_u32 v[122:123], null, s8, v136, 0
	v_mad_u64_u32 v[127:128], null, s9, v48, v[98:99]
	v_mov_b32_e32 v48, v113
	s_waitcnt lgkmcnt(1)
	v_mad_u64_u32 v[128:129], null, s9, v50, v[99:100]
	v_mov_b32_e32 v50, v115
	v_mul_hi_u32 v131, 0xf0f0f0f1, v137
	v_mad_u64_u32 v[118:119], null, s8, v135, 0
	v_mad_u64_u32 v[124:125], null, s8, v141, 0
	;; [unrolled: 1-line block ×3, first 2 shown]
	v_mov_b32_e32 v49, v117
	v_lshrrev_b32_e32 v107, 9, v131
	v_mov_b32_e32 v96, v119
	v_mov_b32_e32 v98, v121
	;; [unrolled: 1-line block ×3, first 2 shown]
	v_mul_hi_u32 v142, 0xf0f0f0f1, v138
	v_mad_u32_u24 v148, 0x220, v107, v137
	v_mov_b32_e32 v99, v123
	v_mad_u64_u32 v[130:131], null, s9, v132, v[95:96]
	v_mad_u64_u32 v[131:132], null, s9, v133, v[48:49]
	s_delay_alu instid0(VALU_DEP_4) | instskip(SKIP_3) | instid1(VALU_DEP_3)
	v_add_nc_u32_e32 v150, 0x220, v148
	v_lshrrev_b32_e32 v109, 9, v142
	v_mov_b32_e32 v107, v128
	v_mov_b32_e32 v111, v130
	v_mad_u32_u24 v149, 0x220, v109, v138
	v_mov_b32_e32 v109, v129
	v_mov_b32_e32 v113, v131
	s_delay_alu instid0(VALU_DEP_4) | instskip(NEXT) | instid1(VALU_DEP_4)
	v_lshlrev_b64 v[110:111], 4, v[110:111]
	v_mad_u64_u32 v[128:129], null, s8, v149, 0
	v_add_nc_u32_e32 v151, 0x220, v149
	s_delay_alu instid0(VALU_DEP_4) | instskip(NEXT) | instid1(VALU_DEP_2)
	v_lshlrev_b64 v[112:113], 4, v[112:113]
	v_mad_u64_u32 v[130:131], null, s8, v151, 0
	s_waitcnt vmcnt(3)
	v_mad_u64_u32 v[132:133], null, s9, v134, v[50:51]
	v_mad_u64_u32 v[133:134], null, s9, v139, v[49:50]
	;; [unrolled: 1-line block ×5, first 2 shown]
	v_dual_mov_b32 v105, v126 :: v_dual_mov_b32 v98, v127
	v_mad_u64_u32 v[126:127], null, s8, v148, 0
	v_mov_b32_e32 v119, v48
	v_mov_b32_e32 v121, v49
	v_mov_b32_e32 v125, v134
	v_mul_f64 v[48:49], v[38:39], v[30:31]
	v_mul_f64 v[30:31], v[100:101], v[30:31]
	;; [unrolled: 1-line block ×3, first 2 shown]
	v_mov_b32_e32 v50, v127
	ds_load_2addr_b64 v[71:74], v71 offset0:92 offset1:160
	ds_load_2addr_b64 v[75:78], v75 offset0:84 offset1:152
	;; [unrolled: 1-line block ×6, first 2 shown]
	v_mad_u64_u32 v[95:96], null, s9, v136, v[99:100]
	v_mov_b32_e32 v115, v132
	v_mov_b32_e32 v117, v133
	v_mul_f64 v[132:133], v[18:19], v[34:35]
	v_mul_f64 v[136:137], v[24:25], v[46:47]
	;; [unrolled: 1-line block ×3, first 2 shown]
	s_waitcnt vmcnt(2)
	v_mul_f64 v[140:141], v[20:21], v[57:58]
	s_waitcnt vmcnt(1)
	v_mul_f64 v[142:143], v[22:23], v[61:62]
	;; [unrolled: 2-line block ×3, first 2 shown]
	v_lshlrev_b64 v[104:105], 4, v[104:105]
	v_lshlrev_b64 v[96:97], 4, v[97:98]
	;; [unrolled: 1-line block ×4, first 2 shown]
	s_waitcnt lgkmcnt(5)
	v_mul_f64 v[42:43], v[73:74], v[42:43]
	v_mad_u64_u32 v[108:109], null, s8, v150, 0
	s_waitcnt lgkmcnt(3)
	v_mul_f64 v[65:66], v[79:80], v[65:66]
	s_waitcnt lgkmcnt(1)
	v_mul_f64 v[57:58], v[87:88], v[57:58]
	;; [unrolled: 2-line block ×3, first 2 shown]
	v_mul_f64 v[53:54], v[93:94], v[53:54]
	v_mul_f64 v[61:62], v[89:90], v[61:62]
	;; [unrolled: 1-line block ×3, first 2 shown]
	v_add_co_u32 v104, vcc_lo, v146, v104
	v_add_co_ci_u32_e32 v105, vcc_lo, v147, v105, vcc_lo
	v_mov_b32_e32 v123, v95
	v_mov_b32_e32 v95, v129
	v_add_co_u32 v96, vcc_lo, v146, v96
	v_add_co_ci_u32_e32 v97, vcc_lo, v147, v97, vcc_lo
	v_fma_f64 v[48:49], v[28:29], v[100:101], -v[48:49]
	v_fma_f64 v[28:29], v[38:39], v[28:29], v[30:31]
	v_fma_f64 v[38:39], v[40:41], v[73:74], -v[134:135]
	v_add_co_u32 v98, vcc_lo, v146, v98
	v_add_co_ci_u32_e32 v99, vcc_lo, v147, v99, vcc_lo
	v_add_co_u32 v73, vcc_lo, v146, v106
	v_fma_f64 v[30:31], v[32:33], v[81:82], -v[132:133]
	v_add_co_ci_u32_e32 v74, vcc_lo, v147, v107, vcc_lo
	v_lshlrev_b64 v[114:115], 4, v[114:115]
	v_lshlrev_b64 v[116:117], 4, v[116:117]
	;; [unrolled: 1-line block ×6, first 2 shown]
	v_fma_f64 v[2:3], v[2:3], v[40:41], v[42:43]
	v_fma_f64 v[40:41], v[44:45], v[91:92], -v[136:137]
	v_fma_f64 v[20:21], v[20:21], v[55:56], v[57:58]
	v_fma_f64 v[42:43], v[24:25], v[44:45], v[46:47]
	v_fma_f64 v[44:45], v[51:52], v[93:94], -v[138:139]
	v_fma_f64 v[46:47], v[26:27], v[51:52], v[53:54]
	v_fma_f64 v[51:52], v[55:56], v[87:88], -v[140:141]
	v_fma_f64 v[53:54], v[59:60], v[89:90], -v[142:143]
	v_fma_f64 v[55:56], v[22:23], v[59:60], v[61:62]
	v_fma_f64 v[57:58], v[63:64], v[79:80], -v[144:145]
	v_fma_f64 v[59:60], v[16:17], v[63:64], v[65:66]
	v_fma_f64 v[61:62], v[18:19], v[32:33], v[34:35]
	v_add_co_u32 v79, vcc_lo, v146, v110
	v_add_co_ci_u32_e32 v80, vcc_lo, v147, v111, vcc_lo
	v_add_co_u32 v81, vcc_lo, v146, v112
	v_add_f64 v[16:17], v[0:1], -v[28:29]
	v_add_f64 v[26:27], v[102:103], -v[38:39]
	;; [unrolled: 1-line block ×3, first 2 shown]
	v_add_co_ci_u32_e32 v82, vcc_lo, v147, v113, vcc_lo
	v_add_co_u32 v87, vcc_lo, v146, v114
	v_add_co_ci_u32_e32 v88, vcc_lo, v147, v115, vcc_lo
	v_add_f64 v[22:23], v[77:78], -v[30:31]
	v_add_co_u32 v89, vcc_lo, v146, v116
	v_add_co_ci_u32_e32 v90, vcc_lo, v147, v117, vcc_lo
	v_add_co_u32 v91, vcc_lo, v146, v118
	v_add_co_ci_u32_e32 v92, vcc_lo, v147, v119, vcc_lo
	v_add_f64 v[24:25], v[36:37], -v[2:3]
	v_add_f64 v[30:31], v[67:68], -v[40:41]
	v_add_co_u32 v93, vcc_lo, v146, v120
	v_add_f64 v[38:39], v[8:9], -v[20:21]
	v_add_f64 v[28:29], v[12:13], -v[42:43]
	;; [unrolled: 1-line block ×10, first 2 shown]
	v_mad_u64_u32 v[63:64], null, s9, v148, v[50:51]
	v_mad_u64_u32 v[64:65], null, s9, v149, v[95:96]
	v_dual_mov_b32 v50, v109 :: v_dual_mov_b32 v65, v131
	v_add_co_ci_u32_e32 v94, vcc_lo, v147, v121, vcc_lo
	v_fma_f64 v[52:53], v[102:103], 2.0, -v[26:27]
	s_delay_alu instid0(VALU_DEP_3) | instskip(NEXT) | instid1(VALU_DEP_4)
	v_mad_u64_u32 v[2:3], null, s9, v150, v[50:51]
	v_mad_u64_u32 v[50:51], null, s9, v151, v[65:66]
	v_mov_b32_e32 v127, v63
	v_mov_b32_e32 v129, v64
	v_add_co_u32 v100, vcc_lo, v146, v122
	v_mov_b32_e32 v109, v2
	s_delay_alu instid0(VALU_DEP_4)
	v_lshlrev_b64 v[106:107], 4, v[126:127]
	v_mov_b32_e32 v131, v50
	v_add_co_ci_u32_e32 v101, vcc_lo, v147, v123, vcc_lo
	v_fma_f64 v[50:51], v[36:37], 2.0, -v[24:25]
	v_fma_f64 v[56:57], v[67:68], 2.0, -v[30:31]
	;; [unrolled: 1-line block ×3, first 2 shown]
	v_add_co_u32 v0, vcc_lo, v146, v124
	v_fma_f64 v[54:55], v[12:13], 2.0, -v[28:29]
	v_fma_f64 v[60:61], v[69:70], 2.0, -v[34:35]
	v_fma_f64 v[58:59], v[14:15], 2.0, -v[32:33]
	v_fma_f64 v[14:15], v[83:84], 2.0, -v[40:41]
	v_fma_f64 v[12:13], v[8:9], 2.0, -v[38:39]
	v_fma_f64 v[64:65], v[85:86], 2.0, -v[44:45]
	v_fma_f64 v[62:63], v[10:11], 2.0, -v[42:43]
	v_fma_f64 v[10:11], v[75:76], 2.0, -v[48:49]
	v_fma_f64 v[8:9], v[4:5], 2.0, -v[46:47]
	v_fma_f64 v[4:5], v[77:78], 2.0, -v[22:23]
	v_fma_f64 v[2:3], v[6:7], 2.0, -v[20:21]
	v_fma_f64 v[68:69], v[71:72], 2.0, -v[18:19]
	v_lshlrev_b64 v[6:7], 4, v[128:129]
	v_add_co_ci_u32_e32 v1, vcc_lo, v147, v125, vcc_lo
	v_lshlrev_b64 v[36:37], 4, v[108:109]
	v_add_co_u32 v75, vcc_lo, v146, v106
	v_add_co_ci_u32_e32 v76, vcc_lo, v147, v107, vcc_lo
	v_lshlrev_b64 v[70:71], 4, v[130:131]
	v_add_co_u32 v6, vcc_lo, v146, v6
	v_add_co_ci_u32_e32 v7, vcc_lo, v147, v7, vcc_lo
	v_add_co_u32 v36, vcc_lo, v146, v36
	v_add_co_ci_u32_e32 v37, vcc_lo, v147, v37, vcc_lo
	;; [unrolled: 2-line block ×3, first 2 shown]
	s_clause 0xf
	global_store_b128 v[104:105], v[50:53], off
	global_store_b128 v[79:80], v[24:27], off
	global_store_b128 v[96:97], v[54:57], off
	global_store_b128 v[81:82], v[28:31], off
	global_store_b128 v[98:99], v[58:61], off
	global_store_b128 v[87:88], v[32:35], off
	global_store_b128 v[73:74], v[12:15], off
	global_store_b128 v[89:90], v[38:41], off
	global_store_b128 v[91:92], v[62:65], off
	global_store_b128 v[93:94], v[42:45], off
	global_store_b128 v[100:101], v[8:11], off
	global_store_b128 v[0:1], v[46:49], off
	global_store_b128 v[75:76], v[2:5], off
	global_store_b128 v[36:37], v[20:23], off
	global_store_b128 v[6:7], v[66:69], off
	global_store_b128 v[70:71], v[16:19], off
.LBB0_16:
	s_nop 0
	s_sendmsg sendmsg(MSG_DEALLOC_VGPRS)
	s_endpgm
	.section	.rodata,"a",@progbits
	.p2align	6, 0x0
	.amdhsa_kernel fft_rtc_back_len1088_factors_17_4_4_2_2_wgs_204_tpt_68_halfLds_dp_ip_CI_sbrr_dirReg
		.amdhsa_group_segment_fixed_size 0
		.amdhsa_private_segment_fixed_size 0
		.amdhsa_kernarg_size 88
		.amdhsa_user_sgpr_count 15
		.amdhsa_user_sgpr_dispatch_ptr 0
		.amdhsa_user_sgpr_queue_ptr 0
		.amdhsa_user_sgpr_kernarg_segment_ptr 1
		.amdhsa_user_sgpr_dispatch_id 0
		.amdhsa_user_sgpr_private_segment_size 0
		.amdhsa_wavefront_size32 1
		.amdhsa_uses_dynamic_stack 0
		.amdhsa_enable_private_segment 0
		.amdhsa_system_sgpr_workgroup_id_x 1
		.amdhsa_system_sgpr_workgroup_id_y 0
		.amdhsa_system_sgpr_workgroup_id_z 0
		.amdhsa_system_sgpr_workgroup_info 0
		.amdhsa_system_vgpr_workitem_id 0
		.amdhsa_next_free_vgpr 229
		.amdhsa_next_free_sgpr 58
		.amdhsa_reserve_vcc 1
		.amdhsa_float_round_mode_32 0
		.amdhsa_float_round_mode_16_64 0
		.amdhsa_float_denorm_mode_32 3
		.amdhsa_float_denorm_mode_16_64 3
		.amdhsa_dx10_clamp 1
		.amdhsa_ieee_mode 1
		.amdhsa_fp16_overflow 0
		.amdhsa_workgroup_processor_mode 1
		.amdhsa_memory_ordered 1
		.amdhsa_forward_progress 0
		.amdhsa_shared_vgpr_count 0
		.amdhsa_exception_fp_ieee_invalid_op 0
		.amdhsa_exception_fp_denorm_src 0
		.amdhsa_exception_fp_ieee_div_zero 0
		.amdhsa_exception_fp_ieee_overflow 0
		.amdhsa_exception_fp_ieee_underflow 0
		.amdhsa_exception_fp_ieee_inexact 0
		.amdhsa_exception_int_div_zero 0
	.end_amdhsa_kernel
	.text
.Lfunc_end0:
	.size	fft_rtc_back_len1088_factors_17_4_4_2_2_wgs_204_tpt_68_halfLds_dp_ip_CI_sbrr_dirReg, .Lfunc_end0-fft_rtc_back_len1088_factors_17_4_4_2_2_wgs_204_tpt_68_halfLds_dp_ip_CI_sbrr_dirReg
                                        ; -- End function
	.section	.AMDGPU.csdata,"",@progbits
; Kernel info:
; codeLenInByte = 15552
; NumSgprs: 60
; NumVgprs: 229
; ScratchSize: 0
; MemoryBound: 1
; FloatMode: 240
; IeeeMode: 1
; LDSByteSize: 0 bytes/workgroup (compile time only)
; SGPRBlocks: 7
; VGPRBlocks: 28
; NumSGPRsForWavesPerEU: 60
; NumVGPRsForWavesPerEU: 229
; Occupancy: 6
; WaveLimiterHint : 1
; COMPUTE_PGM_RSRC2:SCRATCH_EN: 0
; COMPUTE_PGM_RSRC2:USER_SGPR: 15
; COMPUTE_PGM_RSRC2:TRAP_HANDLER: 0
; COMPUTE_PGM_RSRC2:TGID_X_EN: 1
; COMPUTE_PGM_RSRC2:TGID_Y_EN: 0
; COMPUTE_PGM_RSRC2:TGID_Z_EN: 0
; COMPUTE_PGM_RSRC2:TIDIG_COMP_CNT: 0
	.text
	.p2alignl 7, 3214868480
	.fill 96, 4, 3214868480
	.type	__hip_cuid_d8c97997c8ccb9ea,@object ; @__hip_cuid_d8c97997c8ccb9ea
	.section	.bss,"aw",@nobits
	.globl	__hip_cuid_d8c97997c8ccb9ea
__hip_cuid_d8c97997c8ccb9ea:
	.byte	0                               ; 0x0
	.size	__hip_cuid_d8c97997c8ccb9ea, 1

	.ident	"AMD clang version 19.0.0git (https://github.com/RadeonOpenCompute/llvm-project roc-6.4.0 25133 c7fe45cf4b819c5991fe208aaa96edf142730f1d)"
	.section	".note.GNU-stack","",@progbits
	.addrsig
	.addrsig_sym __hip_cuid_d8c97997c8ccb9ea
	.amdgpu_metadata
---
amdhsa.kernels:
  - .args:
      - .actual_access:  read_only
        .address_space:  global
        .offset:         0
        .size:           8
        .value_kind:     global_buffer
      - .offset:         8
        .size:           8
        .value_kind:     by_value
      - .actual_access:  read_only
        .address_space:  global
        .offset:         16
        .size:           8
        .value_kind:     global_buffer
      - .actual_access:  read_only
        .address_space:  global
        .offset:         24
        .size:           8
        .value_kind:     global_buffer
      - .offset:         32
        .size:           8
        .value_kind:     by_value
      - .actual_access:  read_only
        .address_space:  global
        .offset:         40
        .size:           8
        .value_kind:     global_buffer
      - .actual_access:  read_only
        .address_space:  global
        .offset:         48
        .size:           8
        .value_kind:     global_buffer
      - .offset:         56
        .size:           4
        .value_kind:     by_value
      - .actual_access:  read_only
        .address_space:  global
        .offset:         64
        .size:           8
        .value_kind:     global_buffer
      - .actual_access:  read_only
        .address_space:  global
        .offset:         72
        .size:           8
        .value_kind:     global_buffer
      - .address_space:  global
        .offset:         80
        .size:           8
        .value_kind:     global_buffer
    .group_segment_fixed_size: 0
    .kernarg_segment_align: 8
    .kernarg_segment_size: 88
    .language:       OpenCL C
    .language_version:
      - 2
      - 0
    .max_flat_workgroup_size: 204
    .name:           fft_rtc_back_len1088_factors_17_4_4_2_2_wgs_204_tpt_68_halfLds_dp_ip_CI_sbrr_dirReg
    .private_segment_fixed_size: 0
    .sgpr_count:     60
    .sgpr_spill_count: 0
    .symbol:         fft_rtc_back_len1088_factors_17_4_4_2_2_wgs_204_tpt_68_halfLds_dp_ip_CI_sbrr_dirReg.kd
    .uniform_work_group_size: 1
    .uses_dynamic_stack: false
    .vgpr_count:     229
    .vgpr_spill_count: 0
    .wavefront_size: 32
    .workgroup_processor_mode: 1
amdhsa.target:   amdgcn-amd-amdhsa--gfx1100
amdhsa.version:
  - 1
  - 2
...

	.end_amdgpu_metadata
